;; amdgpu-corpus repo=zjin-lcf/HeCBench kind=compiled arch=gfx1030 opt=O3
	.amdgcn_target "amdgcn-amd-amdhsa--gfx1030"
	.amdhsa_code_object_version 6
	.text
	.protected	_Z22pad_projections_kernelPdiiii ; -- Begin function _Z22pad_projections_kernelPdiiii
	.globl	_Z22pad_projections_kernelPdiiii
	.p2align	8
	.type	_Z22pad_projections_kernelPdiiii,@function
_Z22pad_projections_kernelPdiiii:       ; @_Z22pad_projections_kernelPdiiii
; %bb.0:
	s_clause 0x1
	s_load_dword s7, s[4:5], 0x24
	s_load_dwordx4 s[0:3], s[4:5], 0x8
	s_waitcnt lgkmcnt(0)
	s_and_b32 s7, s7, 0xffff
	v_mad_u64_u32 v[0:1], null, s6, s7, v[0:1]
	v_cmp_gt_i32_e32 vcc_lo, s2, v0
	s_and_saveexec_b32 s2, vcc_lo
	s_cbranch_execz .LBB0_2
; %bb.1:
	v_mad_u64_u32 v[0:1], null, s3, s0, v[0:1]
	s_load_dwordx2 s[2:3], s[4:5], 0x0
	v_mov_b32_e32 v2, 0
	v_mov_b32_e32 v3, v2
	v_mul_lo_u32 v0, v0, s1
	v_ashrrev_i32_e32 v1, 31, v0
	v_lshlrev_b64 v[0:1], 3, v[0:1]
	s_waitcnt lgkmcnt(0)
	v_add_co_u32 v0, vcc_lo, s2, v0
	v_add_co_ci_u32_e64 v1, null, s3, v1, vcc_lo
	global_store_dwordx2 v[0:1], v[2:3], off
.LBB0_2:
	s_endpgm
	.section	.rodata,"a",@progbits
	.p2align	6, 0x0
	.amdhsa_kernel _Z22pad_projections_kernelPdiiii
		.amdhsa_group_segment_fixed_size 0
		.amdhsa_private_segment_fixed_size 0
		.amdhsa_kernarg_size 280
		.amdhsa_user_sgpr_count 6
		.amdhsa_user_sgpr_private_segment_buffer 1
		.amdhsa_user_sgpr_dispatch_ptr 0
		.amdhsa_user_sgpr_queue_ptr 0
		.amdhsa_user_sgpr_kernarg_segment_ptr 1
		.amdhsa_user_sgpr_dispatch_id 0
		.amdhsa_user_sgpr_flat_scratch_init 0
		.amdhsa_user_sgpr_private_segment_size 0
		.amdhsa_wavefront_size32 1
		.amdhsa_uses_dynamic_stack 0
		.amdhsa_system_sgpr_private_segment_wavefront_offset 0
		.amdhsa_system_sgpr_workgroup_id_x 1
		.amdhsa_system_sgpr_workgroup_id_y 0
		.amdhsa_system_sgpr_workgroup_id_z 0
		.amdhsa_system_sgpr_workgroup_info 0
		.amdhsa_system_vgpr_workitem_id 0
		.amdhsa_next_free_vgpr 4
		.amdhsa_next_free_sgpr 8
		.amdhsa_reserve_vcc 1
		.amdhsa_reserve_flat_scratch 0
		.amdhsa_float_round_mode_32 0
		.amdhsa_float_round_mode_16_64 0
		.amdhsa_float_denorm_mode_32 3
		.amdhsa_float_denorm_mode_16_64 3
		.amdhsa_dx10_clamp 1
		.amdhsa_ieee_mode 1
		.amdhsa_fp16_overflow 0
		.amdhsa_workgroup_processor_mode 1
		.amdhsa_memory_ordered 1
		.amdhsa_forward_progress 1
		.amdhsa_shared_vgpr_count 0
		.amdhsa_exception_fp_ieee_invalid_op 0
		.amdhsa_exception_fp_denorm_src 0
		.amdhsa_exception_fp_ieee_div_zero 0
		.amdhsa_exception_fp_ieee_overflow 0
		.amdhsa_exception_fp_ieee_underflow 0
		.amdhsa_exception_fp_ieee_inexact 0
		.amdhsa_exception_int_div_zero 0
	.end_amdhsa_kernel
	.text
.Lfunc_end0:
	.size	_Z22pad_projections_kernelPdiiii, .Lfunc_end0-_Z22pad_projections_kernelPdiiii
                                        ; -- End function
	.set _Z22pad_projections_kernelPdiiii.num_vgpr, 4
	.set _Z22pad_projections_kernelPdiiii.num_agpr, 0
	.set _Z22pad_projections_kernelPdiiii.numbered_sgpr, 8
	.set _Z22pad_projections_kernelPdiiii.num_named_barrier, 0
	.set _Z22pad_projections_kernelPdiiii.private_seg_size, 0
	.set _Z22pad_projections_kernelPdiiii.uses_vcc, 1
	.set _Z22pad_projections_kernelPdiiii.uses_flat_scratch, 0
	.set _Z22pad_projections_kernelPdiiii.has_dyn_sized_stack, 0
	.set _Z22pad_projections_kernelPdiiii.has_recursion, 0
	.set _Z22pad_projections_kernelPdiiii.has_indirect_call, 0
	.section	.AMDGPU.csdata,"",@progbits
; Kernel info:
; codeLenInByte = 128
; TotalNumSgprs: 10
; NumVgprs: 4
; ScratchSize: 0
; MemoryBound: 0
; FloatMode: 240
; IeeeMode: 1
; LDSByteSize: 0 bytes/workgroup (compile time only)
; SGPRBlocks: 0
; VGPRBlocks: 0
; NumSGPRsForWavesPerEU: 10
; NumVGPRsForWavesPerEU: 4
; Occupancy: 16
; WaveLimiterHint : 0
; COMPUTE_PGM_RSRC2:SCRATCH_EN: 0
; COMPUTE_PGM_RSRC2:USER_SGPR: 6
; COMPUTE_PGM_RSRC2:TRAP_HANDLER: 0
; COMPUTE_PGM_RSRC2:TGID_X_EN: 1
; COMPUTE_PGM_RSRC2:TGID_Y_EN: 0
; COMPUTE_PGM_RSRC2:TGID_Z_EN: 0
; COMPUTE_PGM_RSRC2:TIDIG_COMP_CNT: 0
	.text
	.protected	_Z20map_boudaries_kernelPdiddd ; -- Begin function _Z20map_boudaries_kernelPdiddd
	.globl	_Z20map_boudaries_kernelPdiddd
	.p2align	8
	.type	_Z20map_boudaries_kernelPdiddd,@function
_Z20map_boudaries_kernelPdiddd:         ; @_Z20map_boudaries_kernelPdiddd
; %bb.0:
	s_clause 0x1
	s_load_dword s0, s[4:5], 0x34
	s_load_dword s1, s[4:5], 0x8
	s_waitcnt lgkmcnt(0)
	s_and_b32 s0, s0, 0xffff
	v_mad_u64_u32 v[0:1], null, s6, s0, v[0:1]
	s_mov_b32 s0, exec_lo
	v_cmpx_gt_i32_e64 s1, v0
	s_cbranch_execz .LBB1_2
; %bb.1:
	v_cvt_f64_i32_e32 v[1:2], v0
	s_load_dwordx4 s[0:3], s[4:5], 0x10
	s_waitcnt lgkmcnt(0)
	v_add_f64 v[1:2], v[1:2], -s[0:1]
	s_clause 0x1
	s_load_dwordx2 s[0:1], s[4:5], 0x20
	s_load_dwordx2 s[4:5], s[4:5], 0x0
	s_waitcnt lgkmcnt(0)
	v_fma_f64 v[2:3], s[2:3], v[1:2], s[0:1]
	v_ashrrev_i32_e32 v1, 31, v0
	v_lshlrev_b64 v[0:1], 3, v[0:1]
	v_add_co_u32 v0, vcc_lo, s4, v0
	v_add_co_ci_u32_e64 v1, null, s5, v1, vcc_lo
	global_store_dwordx2 v[0:1], v[2:3], off
.LBB1_2:
	s_endpgm
	.section	.rodata,"a",@progbits
	.p2align	6, 0x0
	.amdhsa_kernel _Z20map_boudaries_kernelPdiddd
		.amdhsa_group_segment_fixed_size 0
		.amdhsa_private_segment_fixed_size 0
		.amdhsa_kernarg_size 296
		.amdhsa_user_sgpr_count 6
		.amdhsa_user_sgpr_private_segment_buffer 1
		.amdhsa_user_sgpr_dispatch_ptr 0
		.amdhsa_user_sgpr_queue_ptr 0
		.amdhsa_user_sgpr_kernarg_segment_ptr 1
		.amdhsa_user_sgpr_dispatch_id 0
		.amdhsa_user_sgpr_flat_scratch_init 0
		.amdhsa_user_sgpr_private_segment_size 0
		.amdhsa_wavefront_size32 1
		.amdhsa_uses_dynamic_stack 0
		.amdhsa_system_sgpr_private_segment_wavefront_offset 0
		.amdhsa_system_sgpr_workgroup_id_x 1
		.amdhsa_system_sgpr_workgroup_id_y 0
		.amdhsa_system_sgpr_workgroup_id_z 0
		.amdhsa_system_sgpr_workgroup_info 0
		.amdhsa_system_vgpr_workitem_id 0
		.amdhsa_next_free_vgpr 4
		.amdhsa_next_free_sgpr 7
		.amdhsa_reserve_vcc 1
		.amdhsa_reserve_flat_scratch 0
		.amdhsa_float_round_mode_32 0
		.amdhsa_float_round_mode_16_64 0
		.amdhsa_float_denorm_mode_32 3
		.amdhsa_float_denorm_mode_16_64 3
		.amdhsa_dx10_clamp 1
		.amdhsa_ieee_mode 1
		.amdhsa_fp16_overflow 0
		.amdhsa_workgroup_processor_mode 1
		.amdhsa_memory_ordered 1
		.amdhsa_forward_progress 1
		.amdhsa_shared_vgpr_count 0
		.amdhsa_exception_fp_ieee_invalid_op 0
		.amdhsa_exception_fp_denorm_src 0
		.amdhsa_exception_fp_ieee_div_zero 0
		.amdhsa_exception_fp_ieee_overflow 0
		.amdhsa_exception_fp_ieee_underflow 0
		.amdhsa_exception_fp_ieee_inexact 0
		.amdhsa_exception_int_div_zero 0
	.end_amdhsa_kernel
	.text
.Lfunc_end1:
	.size	_Z20map_boudaries_kernelPdiddd, .Lfunc_end1-_Z20map_boudaries_kernelPdiddd
                                        ; -- End function
	.set _Z20map_boudaries_kernelPdiddd.num_vgpr, 4
	.set _Z20map_boudaries_kernelPdiddd.num_agpr, 0
	.set _Z20map_boudaries_kernelPdiddd.numbered_sgpr, 7
	.set _Z20map_boudaries_kernelPdiddd.num_named_barrier, 0
	.set _Z20map_boudaries_kernelPdiddd.private_seg_size, 0
	.set _Z20map_boudaries_kernelPdiddd.uses_vcc, 1
	.set _Z20map_boudaries_kernelPdiddd.uses_flat_scratch, 0
	.set _Z20map_boudaries_kernelPdiddd.has_dyn_sized_stack, 0
	.set _Z20map_boudaries_kernelPdiddd.has_recursion, 0
	.set _Z20map_boudaries_kernelPdiddd.has_indirect_call, 0
	.section	.AMDGPU.csdata,"",@progbits
; Kernel info:
; codeLenInByte = 152
; TotalNumSgprs: 9
; NumVgprs: 4
; ScratchSize: 0
; MemoryBound: 0
; FloatMode: 240
; IeeeMode: 1
; LDSByteSize: 0 bytes/workgroup (compile time only)
; SGPRBlocks: 0
; VGPRBlocks: 0
; NumSGPRsForWavesPerEU: 9
; NumVGPRsForWavesPerEU: 4
; Occupancy: 16
; WaveLimiterHint : 0
; COMPUTE_PGM_RSRC2:SCRATCH_EN: 0
; COMPUTE_PGM_RSRC2:USER_SGPR: 6
; COMPUTE_PGM_RSRC2:TRAP_HANDLER: 0
; COMPUTE_PGM_RSRC2:TGID_X_EN: 1
; COMPUTE_PGM_RSRC2:TGID_Y_EN: 0
; COMPUTE_PGM_RSRC2:TGID_Z_EN: 0
; COMPUTE_PGM_RSRC2:TIDIG_COMP_CNT: 0
	.text
	.protected	_Z19rot_detector_kernelPdS_PKdS1_dddi ; -- Begin function _Z19rot_detector_kernelPdS_PKdS1_dddi
	.globl	_Z19rot_detector_kernelPdS_PKdS1_dddi
	.p2align	8
	.type	_Z19rot_detector_kernelPdS_PKdS1_dddi,@function
_Z19rot_detector_kernelPdS_PKdS1_dddi:  ; @_Z19rot_detector_kernelPdS_PKdS1_dddi
; %bb.0:
	s_clause 0x1
	s_load_dword s0, s[4:5], 0x4c
	s_load_dword s1, s[4:5], 0x38
	s_waitcnt lgkmcnt(0)
	s_and_b32 s0, s0, 0xffff
	v_mad_u64_u32 v[0:1], null, s6, s0, v[0:1]
	s_mov_b32 s0, exec_lo
	v_cmpx_gt_i32_e64 s1, v0
	s_cbranch_execz .LBB2_18
; %bb.1:
	s_clause 0x1
	s_load_dwordx4 s[0:3], s[4:5], 0x10
	s_load_dwordx2 s[6:7], s[4:5], 0x30
	v_ashrrev_i32_e32 v1, 31, v0
	v_lshlrev_b64 v[0:1], 3, v[0:1]
	s_waitcnt lgkmcnt(0)
	v_add_co_u32 v2, vcc_lo, s0, v0
	v_add_co_ci_u32_e64 v3, null, s1, v1, vcc_lo
	v_cmp_ngt_f64_e64 s12, 0x41d00000, |s[6:7]|
	v_trig_preop_f64 v[6:7], |s[6:7]|, 0
	v_trig_preop_f64 v[4:5], |s[6:7]|, 1
	global_load_dwordx2 v[12:13], v[2:3], off
	v_cmp_le_f64_e64 s0, 0x7b000000, |s[6:7]|
	v_ldexp_f64 v[8:9], |s[6:7]|, 0xffffff80
	v_trig_preop_f64 v[2:3], |s[6:7]|, 2
	s_and_b32 vcc_lo, exec_lo, s12
	s_cbranch_vccz .LBB2_3
; %bb.2:
	s_and_b32 s1, s7, 0x7fffffff
	v_cndmask_b32_e64 v10, s6, v8, s0
	v_cndmask_b32_e64 v11, s1, v9, s0
	s_mov_b32 s0, 0
	s_mov_b32 s8, 0x54442d18
	;; [unrolled: 1-line block ×4, first 2 shown]
	v_mul_f64 v[14:15], v[6:7], v[10:11]
	v_mul_f64 v[16:17], v[4:5], v[10:11]
	;; [unrolled: 1-line block ×3, first 2 shown]
	s_mov_b32 s11, 0x3c91a626
	v_fma_f64 v[18:19], v[6:7], v[10:11], -v[14:15]
	v_fma_f64 v[30:31], v[4:5], v[10:11], -v[16:17]
	;; [unrolled: 1-line block ×3, first 2 shown]
	v_add_f64 v[20:21], v[16:17], v[18:19]
	v_add_f64 v[22:23], v[20:21], -v[16:17]
	v_add_f64 v[26:27], v[14:15], v[20:21]
	v_add_f64 v[24:25], v[20:21], -v[22:23]
	v_add_f64 v[18:19], v[18:19], -v[22:23]
	v_ldexp_f64 v[22:23], v[26:27], -2
	v_add_f64 v[14:15], v[26:27], -v[14:15]
	v_add_f64 v[16:17], v[16:17], -v[24:25]
	v_add_f64 v[24:25], v[28:29], v[30:31]
	v_cmp_neq_f64_e64 vcc_lo, 0x7ff00000, |v[22:23]|
	v_add_f64 v[14:15], v[20:21], -v[14:15]
	v_add_f64 v[16:17], v[18:19], v[16:17]
	v_fract_f64_e32 v[18:19], v[22:23]
	v_add_f64 v[20:21], v[24:25], v[16:17]
	v_ldexp_f64 v[18:19], v[18:19], 2
	v_add_f64 v[22:23], v[14:15], v[20:21]
	v_cndmask_b32_e32 v19, 0, v19, vcc_lo
	v_cndmask_b32_e32 v18, 0, v18, vcc_lo
	v_add_f64 v[32:33], v[20:21], -v[24:25]
	v_add_f64 v[26:27], v[22:23], v[18:19]
	v_add_f64 v[14:15], v[22:23], -v[14:15]
	v_add_f64 v[38:39], v[20:21], -v[32:33]
	;; [unrolled: 1-line block ×3, first 2 shown]
	v_cmp_gt_f64_e32 vcc_lo, 0, v[26:27]
	v_add_f64 v[26:27], v[24:25], -v[28:29]
	v_add_f64 v[14:15], v[20:21], -v[14:15]
	s_and_b32 s1, vcc_lo, exec_lo
	s_cselect_b32 s1, 0x40100000, 0
	v_add_f64 v[36:37], v[24:25], -v[26:27]
	v_add_f64 v[18:19], v[18:19], s[0:1]
	v_add_f64 v[26:27], v[30:31], -v[26:27]
	v_add_f64 v[24:25], v[24:25], -v[38:39]
	;; [unrolled: 1-line block ×3, first 2 shown]
	v_add_f64 v[34:35], v[22:23], v[18:19]
	v_add_f64 v[16:17], v[16:17], v[24:25]
	;; [unrolled: 1-line block ×3, first 2 shown]
	v_cvt_i32_f64_e32 v34, v[34:35]
	v_add_f64 v[16:17], v[26:27], v[16:17]
	v_cvt_f64_i32_e32 v[32:33], v34
	v_add_f64 v[10:11], v[10:11], v[16:17]
	v_add_f64 v[18:19], v[18:19], -v[32:33]
	v_add_f64 v[10:11], v[14:15], v[10:11]
	v_add_f64 v[24:25], v[22:23], v[18:19]
	v_add_f64 v[16:17], v[24:25], -v[18:19]
	v_cmp_le_f64_e32 vcc_lo, 0.5, v[24:25]
	v_add_f64 v[14:15], v[22:23], -v[16:17]
	s_and_b32 s1, vcc_lo, exec_lo
	s_cselect_b32 s1, 0x3ff00000, 0
	v_add_co_ci_u32_e64 v22, null, 0, v34, vcc_lo
	v_add_f64 v[10:11], v[10:11], v[14:15]
	v_add_f64 v[14:15], v[24:25], -s[0:1]
	v_add_f64 v[16:17], v[14:15], v[10:11]
	v_mul_f64 v[18:19], v[16:17], s[8:9]
	v_add_f64 v[14:15], v[16:17], -v[14:15]
	v_fma_f64 v[20:21], v[16:17], s[8:9], -v[18:19]
	v_add_f64 v[10:11], v[10:11], -v[14:15]
	v_fma_f64 v[14:15], v[16:17], s[10:11], v[20:21]
	v_fma_f64 v[14:15], v[10:11], s[8:9], v[14:15]
	v_add_f64 v[10:11], v[18:19], v[14:15]
	v_add_f64 v[16:17], v[10:11], -v[18:19]
	v_add_f64 v[14:15], v[14:15], -v[16:17]
	s_load_dwordx4 s[8:11], s[4:5], 0x20
	s_cbranch_execz .LBB2_4
	s_branch .LBB2_5
.LBB2_3:
                                        ; implicit-def: $vgpr22
                                        ; implicit-def: $vgpr10_vgpr11
                                        ; implicit-def: $vgpr14_vgpr15
	s_load_dwordx4 s[8:11], s[4:5], 0x20
.LBB2_4:
	s_mov_b32 s0, 0x6dc9c883
	s_mov_b32 s1, 0x3fe45f30
	;; [unrolled: 1-line block ×3, first 2 shown]
	v_mul_f64 v[10:11], |s[6:7]|, s[0:1]
	s_mov_b32 s0, 0x54442d18
	s_mov_b32 s1, 0xbff921fb
	;; [unrolled: 1-line block ×3, first 2 shown]
	v_rndne_f64_e32 v[16:17], v[10:11]
	v_fma_f64 v[10:11], v[16:17], s[0:1], |s[6:7]|
	v_mul_f64 v[14:15], v[16:17], s[14:15]
	s_mov_b32 s0, 0x252049c0
	s_mov_b32 s1, 0xb97b839a
	v_cvt_i32_f64_e32 v22, v[16:17]
	v_fma_f64 v[20:21], v[16:17], s[14:15], v[10:11]
	v_add_f64 v[18:19], v[10:11], v[14:15]
	s_mov_b32 s15, 0x3c91a626
	v_add_f64 v[10:11], v[10:11], -v[18:19]
	v_add_f64 v[18:19], v[18:19], -v[20:21]
	v_add_f64 v[10:11], v[10:11], v[14:15]
	v_fma_f64 v[14:15], v[16:17], s[14:15], v[14:15]
	v_add_f64 v[10:11], v[18:19], v[10:11]
	v_add_f64 v[10:11], v[10:11], -v[14:15]
	v_fma_f64 v[14:15], v[16:17], s[0:1], v[10:11]
	v_add_f64 v[10:11], v[20:21], v[14:15]
	v_add_f64 v[18:19], v[10:11], -v[20:21]
	v_add_f64 v[14:15], v[14:15], -v[18:19]
.LBB2_5:
	v_add_co_u32 v16, vcc_lo, s2, v0
	v_add_co_ci_u32_e64 v17, null, s3, v1, vcc_lo
	s_load_dwordx2 s[2:3], s[4:5], 0x0
	s_and_b32 vcc_lo, exec_lo, s12
	global_load_dwordx2 v[16:17], v[16:17], off
	s_cbranch_vccz .LBB2_7
; %bb.6:
	v_cmp_le_f64_e64 vcc_lo, 0x7b000000, |s[6:7]|
	s_and_b32 s0, s7, 0x7fffffff
	s_mov_b32 s14, 0x54442d18
	s_mov_b32 s15, 0x3ff921fb
	;; [unrolled: 1-line block ×4, first 2 shown]
	v_cndmask_b32_e32 v19, s0, v9, vcc_lo
	v_cndmask_b32_e32 v18, s6, v8, vcc_lo
	s_mov_b32 s0, 0
	v_mul_f64 v[20:21], v[6:7], v[18:19]
	v_mul_f64 v[23:24], v[4:5], v[18:19]
	;; [unrolled: 1-line block ×3, first 2 shown]
	v_fma_f64 v[25:26], v[6:7], v[18:19], -v[20:21]
	v_fma_f64 v[37:38], v[4:5], v[18:19], -v[23:24]
	;; [unrolled: 1-line block ×3, first 2 shown]
	v_add_f64 v[27:28], v[23:24], v[25:26]
	v_add_f64 v[29:30], v[27:28], -v[23:24]
	v_add_f64 v[33:34], v[20:21], v[27:28]
	v_add_f64 v[31:32], v[27:28], -v[29:30]
	v_add_f64 v[25:26], v[25:26], -v[29:30]
	v_ldexp_f64 v[29:30], v[33:34], -2
	v_add_f64 v[20:21], v[33:34], -v[20:21]
	v_add_f64 v[23:24], v[23:24], -v[31:32]
	v_add_f64 v[31:32], v[35:36], v[37:38]
	v_cmp_neq_f64_e64 vcc_lo, 0x7ff00000, |v[29:30]|
	v_add_f64 v[20:21], v[27:28], -v[20:21]
	v_add_f64 v[23:24], v[25:26], v[23:24]
	v_fract_f64_e32 v[25:26], v[29:30]
	v_add_f64 v[27:28], v[31:32], v[23:24]
	v_ldexp_f64 v[25:26], v[25:26], 2
	v_add_f64 v[29:30], v[20:21], v[27:28]
	v_cndmask_b32_e32 v26, 0, v26, vcc_lo
	v_cndmask_b32_e32 v25, 0, v25, vcc_lo
	v_add_f64 v[39:40], v[27:28], -v[31:32]
	v_add_f64 v[33:34], v[29:30], v[25:26]
	v_add_f64 v[20:21], v[29:30], -v[20:21]
	v_add_f64 v[45:46], v[27:28], -v[39:40]
	;; [unrolled: 1-line block ×3, first 2 shown]
	v_cmp_gt_f64_e32 vcc_lo, 0, v[33:34]
	v_add_f64 v[33:34], v[31:32], -v[35:36]
	v_add_f64 v[20:21], v[27:28], -v[20:21]
	s_and_b32 s1, vcc_lo, exec_lo
	s_cselect_b32 s1, 0x40100000, 0
	v_add_f64 v[43:44], v[31:32], -v[33:34]
	v_add_f64 v[25:26], v[25:26], s[0:1]
	v_add_f64 v[33:34], v[37:38], -v[33:34]
	v_add_f64 v[31:32], v[31:32], -v[45:46]
	;; [unrolled: 1-line block ×3, first 2 shown]
	v_add_f64 v[41:42], v[29:30], v[25:26]
	v_add_f64 v[23:24], v[23:24], v[31:32]
	;; [unrolled: 1-line block ×3, first 2 shown]
	v_cvt_i32_f64_e32 v41, v[41:42]
	v_add_f64 v[23:24], v[33:34], v[23:24]
	v_cvt_f64_i32_e32 v[39:40], v41
	v_readfirstlane_b32 s1, v41
	v_add_f64 v[18:19], v[18:19], v[23:24]
	v_add_f64 v[25:26], v[25:26], -v[39:40]
	v_add_f64 v[18:19], v[20:21], v[18:19]
	v_add_f64 v[31:32], v[29:30], v[25:26]
	v_add_f64 v[23:24], v[31:32], -v[25:26]
	v_cmp_le_f64_e32 vcc_lo, 0.5, v[31:32]
	v_add_f64 v[20:21], v[29:30], -v[23:24]
	s_cmp_lg_u32 vcc_lo, 0
	s_addc_u32 s13, s1, 0
	s_and_b32 s1, vcc_lo, exec_lo
	s_cselect_b32 s1, 0x3ff00000, 0
	v_add_f64 v[18:19], v[18:19], v[20:21]
	v_add_f64 v[20:21], v[31:32], -s[0:1]
	v_add_f64 v[23:24], v[20:21], v[18:19]
	v_mul_f64 v[25:26], v[23:24], s[14:15]
	v_add_f64 v[20:21], v[23:24], -v[20:21]
	v_fma_f64 v[27:28], v[23:24], s[14:15], -v[25:26]
	v_add_f64 v[18:19], v[18:19], -v[20:21]
	v_fma_f64 v[20:21], v[23:24], s[16:17], v[27:28]
	v_fma_f64 v[20:21], v[18:19], s[14:15], v[20:21]
	v_add_f64 v[18:19], v[25:26], v[20:21]
	v_add_f64 v[23:24], v[18:19], -v[25:26]
	v_add_f64 v[20:21], v[20:21], -v[23:24]
	s_cbranch_execz .LBB2_8
	s_branch .LBB2_9
.LBB2_7:
                                        ; implicit-def: $sgpr13
                                        ; implicit-def: $vgpr18_vgpr19
                                        ; implicit-def: $vgpr20_vgpr21
.LBB2_8:
	s_mov_b32 s0, 0x6dc9c883
	s_mov_b32 s1, 0x3fe45f30
	;; [unrolled: 1-line block ×3, first 2 shown]
	v_mul_f64 v[18:19], |s[6:7]|, s[0:1]
	s_mov_b32 s0, 0x54442d18
	s_mov_b32 s1, 0xbff921fb
	;; [unrolled: 1-line block ×3, first 2 shown]
	v_rndne_f64_e32 v[20:21], v[18:19]
	v_fma_f64 v[18:19], v[20:21], s[0:1], |s[6:7]|
	v_mul_f64 v[23:24], v[20:21], s[14:15]
	s_mov_b32 s0, 0x252049c0
	s_mov_b32 s1, 0xb97b839a
	v_fma_f64 v[29:30], v[20:21], s[14:15], v[18:19]
	v_add_f64 v[25:26], v[18:19], v[23:24]
	s_mov_b32 s15, 0x3c91a626
	v_add_f64 v[27:28], v[18:19], -v[25:26]
	v_add_f64 v[25:26], v[25:26], -v[29:30]
	v_add_f64 v[18:19], v[27:28], v[23:24]
	v_fma_f64 v[23:24], v[20:21], s[14:15], v[23:24]
	v_cvt_i32_f64_e32 v27, v[20:21]
	v_add_f64 v[18:19], v[25:26], v[18:19]
	v_readfirstlane_b32 s13, v27
	v_add_f64 v[18:19], v[18:19], -v[23:24]
	v_fma_f64 v[23:24], v[20:21], s[0:1], v[18:19]
	v_add_f64 v[18:19], v[29:30], v[23:24]
	v_add_f64 v[25:26], v[18:19], -v[29:30]
	v_add_f64 v[20:21], v[23:24], -v[25:26]
.LBB2_9:
	v_mul_f64 v[23:24], v[10:11], v[10:11]
	v_mul_f64 v[25:26], v[18:19], v[18:19]
	s_mov_b32 s0, 0xb42fdfa7
	s_mov_b32 s14, 0xf9a43bb8
	;; [unrolled: 1-line block ×6, first 2 shown]
	v_mul_f64 v[43:44], v[14:15], 0.5
	v_mul_f64 v[49:50], v[20:21], 0.5
	s_bitcmp0_b32 s13, 0
	s_waitcnt vmcnt(1) lgkmcnt(0)
	v_add_f64 v[12:13], v[12:13], -s[8:9]
	v_fma_f64 v[27:28], v[23:24], s[14:15], s[0:1]
	v_fma_f64 v[29:30], v[25:26], s[14:15], s[0:1]
	s_mov_b32 s0, 0x9037ab78
	s_mov_b32 s14, 0x46cc5e42
	;; [unrolled: 1-line block ×4, first 2 shown]
	v_mul_f64 v[33:34], v[23:24], 0.5
	v_fma_f64 v[31:32], v[23:24], s[14:15], s[0:1]
	v_fma_f64 v[35:36], v[25:26], s[14:15], s[0:1]
	v_mul_f64 v[37:38], v[25:26], 0.5
	s_mov_b32 s0, 0xa17f65f6
	s_mov_b32 s14, 0x19e83e5c
	;; [unrolled: 1-line block ×4, first 2 shown]
	v_mul_f64 v[45:46], v[10:11], -v[23:24]
	v_mul_f64 v[51:52], v[18:19], -v[25:26]
	v_fma_f64 v[27:28], v[23:24], v[27:28], s[16:17]
	v_fma_f64 v[29:30], v[25:26], v[29:30], s[16:17]
	v_add_f64 v[39:40], -v[33:34], 1.0
	v_fma_f64 v[31:32], v[23:24], v[31:32], s[0:1]
	v_fma_f64 v[35:36], v[25:26], v[35:36], s[0:1]
	v_add_f64 v[41:42], -v[37:38], 1.0
	s_mov_b32 s0, 0x19f4ec90
	s_mov_b32 s1, 0x3efa01a0
	v_fma_f64 v[27:28], v[23:24], v[27:28], s[14:15]
	v_fma_f64 v[29:30], v[25:26], v[29:30], s[14:15]
	s_mov_b32 s14, 0x11110bb3
	s_mov_b32 s15, 0x3f811111
	v_add_f64 v[47:48], -v[39:40], 1.0
	v_fma_f64 v[31:32], v[23:24], v[31:32], s[0:1]
	v_fma_f64 v[35:36], v[25:26], v[35:36], s[0:1]
	v_add_f64 v[53:54], -v[41:42], 1.0
	s_mov_b32 s0, 0x16c16967
	s_mov_b32 s1, 0xbf56c16c
	v_fma_f64 v[27:28], v[23:24], v[27:28], s[14:15]
	v_fma_f64 v[29:30], v[25:26], v[29:30], s[14:15]
	v_add_f64 v[33:34], v[47:48], -v[33:34]
	v_fma_f64 v[31:32], v[23:24], v[31:32], s[0:1]
	v_fma_f64 v[35:36], v[25:26], v[35:36], s[0:1]
	v_add_f64 v[37:38], v[53:54], -v[37:38]
	s_mov_b32 s0, 0x55555555
	s_mov_b32 s1, 0x3fa55555
	v_fma_f64 v[27:28], v[45:46], v[27:28], v[43:44]
	v_fma_f64 v[29:30], v[51:52], v[29:30], v[49:50]
	v_mul_f64 v[43:44], v[23:24], v[23:24]
	v_fma_f64 v[33:34], v[10:11], -v[14:15], v[33:34]
	v_fma_f64 v[31:32], v[23:24], v[31:32], s[0:1]
	v_fma_f64 v[14:15], v[23:24], v[27:28], -v[14:15]
	v_mul_f64 v[23:24], v[25:26], v[25:26]
	v_fma_f64 v[27:28], v[25:26], v[35:36], s[0:1]
	v_fma_f64 v[35:36], v[18:19], -v[20:21], v[37:38]
	v_fma_f64 v[20:21], v[25:26], v[29:30], -v[20:21]
	s_mov_b32 s1, 0xbfc55555
	v_fma_f64 v[25:26], v[43:44], v[31:32], v[33:34]
	v_fma_f64 v[14:15], v[45:46], s[0:1], v[14:15]
	;; [unrolled: 1-line block ×4, first 2 shown]
	v_cmp_class_f64_e64 s0, s[6:7], 0x1f8
	s_cselect_b32 s1, -1, 0
	s_lshl_b32 s13, s13, 30
	v_add_f64 v[25:26], v[39:40], v[25:26]
	v_add_f64 v[14:15], v[10:11], -v[14:15]
	v_and_b32_e32 v10, 1, v22
	v_add_f64 v[23:24], v[41:42], v[23:24]
	v_add_f64 v[18:19], v[18:19], -v[20:21]
	v_cmp_eq_u32_e32 vcc_lo, 0, v10
	s_waitcnt vmcnt(0)
	v_add_f64 v[10:11], v[16:17], -s[10:11]
	v_xor_b32_e32 v15, 0x80000000, v15
	v_cndmask_b32_e32 v14, v14, v25, vcc_lo
	v_cndmask_b32_e64 v17, v24, v19, s1
	v_cndmask_b32_e64 v16, v23, v18, s1
	s_xor_b32 s1, s13, s7
	v_lshlrev_b32_e32 v18, 30, v22
	s_and_b32 s1, s1, 0x80000000
	v_cndmask_b32_e32 v15, v15, v26, vcc_lo
	v_xor_b32_e32 v17, s1, v17
	v_cndmask_b32_e64 v16, 0, v16, s0
	v_and_b32_e32 v18, 0x80000000, v18
	v_cndmask_b32_e64 v14, 0, v14, s0
	v_cndmask_b32_e64 v17, 0x7ff80000, v17, s0
	v_xor_b32_e32 v15, v15, v18
	v_mul_f64 v[16:17], v[10:11], v[16:17]
	v_cndmask_b32_e64 v15, 0x7ff80000, v15, s0
	v_fma_f64 v[14:15], v[12:13], v[14:15], -v[16:17]
	v_add_co_u32 v16, vcc_lo, s2, v0
	v_add_co_ci_u32_e64 v17, null, s3, v1, vcc_lo
	s_mov_b32 s2, 0
	s_and_b32 vcc_lo, exec_lo, s12
	v_add_f64 v[14:15], s[8:9], v[14:15]
	global_store_dwordx2 v[16:17], v[14:15], off
	s_cbranch_vccz .LBB2_11
; %bb.10:
	v_cmp_le_f64_e64 vcc_lo, 0x7b000000, |s[6:7]|
	s_and_b32 s1, s7, 0x7fffffff
	s_mov_b32 s8, 0x54442d18
	s_mov_b32 s9, 0x3ff921fb
	;; [unrolled: 1-line block ×4, first 2 shown]
	v_cndmask_b32_e32 v15, s1, v9, vcc_lo
	v_cndmask_b32_e32 v14, s6, v8, vcc_lo
	v_mul_f64 v[16:17], v[6:7], v[14:15]
	v_mul_f64 v[18:19], v[4:5], v[14:15]
	;; [unrolled: 1-line block ×3, first 2 shown]
	v_fma_f64 v[20:21], v[6:7], v[14:15], -v[16:17]
	v_fma_f64 v[32:33], v[4:5], v[14:15], -v[18:19]
	;; [unrolled: 1-line block ×3, first 2 shown]
	v_add_f64 v[22:23], v[18:19], v[20:21]
	v_add_f64 v[24:25], v[22:23], -v[18:19]
	v_add_f64 v[28:29], v[16:17], v[22:23]
	v_add_f64 v[26:27], v[22:23], -v[24:25]
	v_add_f64 v[20:21], v[20:21], -v[24:25]
	v_ldexp_f64 v[24:25], v[28:29], -2
	v_add_f64 v[16:17], v[28:29], -v[16:17]
	v_add_f64 v[18:19], v[18:19], -v[26:27]
	v_add_f64 v[26:27], v[30:31], v[32:33]
	v_cmp_neq_f64_e64 vcc_lo, 0x7ff00000, |v[24:25]|
	v_add_f64 v[16:17], v[22:23], -v[16:17]
	v_add_f64 v[18:19], v[20:21], v[18:19]
	v_fract_f64_e32 v[20:21], v[24:25]
	v_add_f64 v[22:23], v[26:27], v[18:19]
	v_ldexp_f64 v[20:21], v[20:21], 2
	v_add_f64 v[24:25], v[16:17], v[22:23]
	v_cndmask_b32_e32 v21, 0, v21, vcc_lo
	v_cndmask_b32_e32 v20, 0, v20, vcc_lo
	v_add_f64 v[34:35], v[22:23], -v[26:27]
	v_add_f64 v[28:29], v[24:25], v[20:21]
	v_add_f64 v[16:17], v[24:25], -v[16:17]
	v_add_f64 v[40:41], v[22:23], -v[34:35]
	;; [unrolled: 1-line block ×3, first 2 shown]
	v_cmp_gt_f64_e32 vcc_lo, 0, v[28:29]
	v_add_f64 v[28:29], v[26:27], -v[30:31]
	v_add_f64 v[16:17], v[22:23], -v[16:17]
	s_and_b32 s1, vcc_lo, exec_lo
	s_cselect_b32 s3, 0x40100000, 0
	v_add_f64 v[38:39], v[26:27], -v[28:29]
	v_add_f64 v[20:21], v[20:21], s[2:3]
	v_add_f64 v[28:29], v[32:33], -v[28:29]
	v_add_f64 v[26:27], v[26:27], -v[40:41]
	v_add_f64 v[32:33], v[30:31], -v[38:39]
	v_add_f64 v[36:37], v[24:25], v[20:21]
	v_add_f64 v[18:19], v[18:19], v[26:27]
	;; [unrolled: 1-line block ×3, first 2 shown]
	v_cvt_i32_f64_e32 v36, v[36:37]
	v_add_f64 v[18:19], v[28:29], v[18:19]
	v_cvt_f64_i32_e32 v[34:35], v36
	v_readfirstlane_b32 s1, v36
	v_add_f64 v[14:15], v[14:15], v[18:19]
	v_add_f64 v[20:21], v[20:21], -v[34:35]
	v_add_f64 v[14:15], v[16:17], v[14:15]
	v_add_f64 v[26:27], v[24:25], v[20:21]
	v_add_f64 v[18:19], v[26:27], -v[20:21]
	v_cmp_le_f64_e32 vcc_lo, 0.5, v[26:27]
	v_add_f64 v[16:17], v[24:25], -v[18:19]
	s_cmp_lg_u32 vcc_lo, 0
	s_addc_u32 s1, s1, 0
	s_and_b32 s3, vcc_lo, exec_lo
	s_cselect_b32 s3, 0x3ff00000, 0
	v_add_f64 v[14:15], v[14:15], v[16:17]
	v_add_f64 v[16:17], v[26:27], -s[2:3]
	v_add_f64 v[18:19], v[16:17], v[14:15]
	v_mul_f64 v[20:21], v[18:19], s[8:9]
	v_add_f64 v[16:17], v[18:19], -v[16:17]
	v_fma_f64 v[22:23], v[18:19], s[8:9], -v[20:21]
	v_add_f64 v[14:15], v[14:15], -v[16:17]
	v_fma_f64 v[16:17], v[18:19], s[14:15], v[22:23]
	v_fma_f64 v[16:17], v[14:15], s[8:9], v[16:17]
	v_add_f64 v[14:15], v[20:21], v[16:17]
	v_add_f64 v[18:19], v[14:15], -v[20:21]
	v_add_f64 v[16:17], v[16:17], -v[18:19]
	s_andn2_b32 vcc_lo, exec_lo, s2
	s_cbranch_vccz .LBB2_12
	s_branch .LBB2_13
.LBB2_11:
                                        ; implicit-def: $sgpr1
                                        ; implicit-def: $vgpr14_vgpr15
                                        ; implicit-def: $vgpr16_vgpr17
.LBB2_12:
	s_mov_b32 s2, 0x6dc9c883
	s_mov_b32 s3, 0x3fe45f30
	s_mov_b32 s9, 0xbc91a626
	v_mul_f64 v[14:15], |s[6:7]|, s[2:3]
	s_mov_b32 s2, 0x54442d18
	s_mov_b32 s3, 0xbff921fb
	s_mov_b32 s8, 0x33145c00
	v_rndne_f64_e32 v[16:17], v[14:15]
	v_fma_f64 v[14:15], v[16:17], s[2:3], |s[6:7]|
	v_mul_f64 v[18:19], v[16:17], s[8:9]
	s_mov_b32 s2, 0x252049c0
	s_mov_b32 s3, 0xb97b839a
	v_fma_f64 v[24:25], v[16:17], s[8:9], v[14:15]
	v_add_f64 v[20:21], v[14:15], v[18:19]
	s_mov_b32 s9, 0x3c91a626
	v_add_f64 v[22:23], v[14:15], -v[20:21]
	v_add_f64 v[20:21], v[20:21], -v[24:25]
	v_add_f64 v[14:15], v[22:23], v[18:19]
	v_fma_f64 v[18:19], v[16:17], s[8:9], v[18:19]
	v_cvt_i32_f64_e32 v22, v[16:17]
	v_add_f64 v[14:15], v[20:21], v[14:15]
	v_readfirstlane_b32 s1, v22
	v_add_f64 v[14:15], v[14:15], -v[18:19]
	v_fma_f64 v[18:19], v[16:17], s[2:3], v[14:15]
	v_add_f64 v[14:15], v[24:25], v[18:19]
	v_add_f64 v[20:21], v[14:15], -v[24:25]
	v_add_f64 v[16:17], v[18:19], -v[20:21]
.LBB2_13:
	s_load_dwordx2 s[2:3], s[4:5], 0x8
	s_and_b32 vcc_lo, exec_lo, s12
	s_cbranch_vccz .LBB2_15
; %bb.14:
	v_cmp_le_f64_e64 vcc_lo, 0x7b000000, |s[6:7]|
	s_and_b32 s4, s7, 0x7fffffff
	s_mov_b32 s8, 0x54442d18
	s_mov_b32 s9, 0x3ff921fb
	;; [unrolled: 1-line block ×4, first 2 shown]
	v_cndmask_b32_e32 v9, s4, v9, vcc_lo
	v_cndmask_b32_e32 v8, s6, v8, vcc_lo
	s_mov_b32 s4, 0
	v_mul_f64 v[18:19], v[6:7], v[8:9]
	v_mul_f64 v[20:21], v[4:5], v[8:9]
	;; [unrolled: 1-line block ×3, first 2 shown]
	v_fma_f64 v[6:7], v[6:7], v[8:9], -v[18:19]
	v_fma_f64 v[4:5], v[4:5], v[8:9], -v[20:21]
	;; [unrolled: 1-line block ×3, first 2 shown]
	v_add_f64 v[22:23], v[20:21], v[6:7]
	v_add_f64 v[24:25], v[22:23], -v[20:21]
	v_add_f64 v[28:29], v[18:19], v[22:23]
	v_add_f64 v[26:27], v[22:23], -v[24:25]
	v_add_f64 v[6:7], v[6:7], -v[24:25]
	v_ldexp_f64 v[24:25], v[28:29], -2
	v_add_f64 v[18:19], v[28:29], -v[18:19]
	v_add_f64 v[20:21], v[20:21], -v[26:27]
	v_add_f64 v[26:27], v[30:31], v[4:5]
	v_cmp_neq_f64_e64 vcc_lo, 0x7ff00000, |v[24:25]|
	v_add_f64 v[18:19], v[22:23], -v[18:19]
	v_add_f64 v[6:7], v[6:7], v[20:21]
	v_fract_f64_e32 v[20:21], v[24:25]
	v_add_f64 v[22:23], v[26:27], v[6:7]
	v_ldexp_f64 v[20:21], v[20:21], 2
	v_add_f64 v[24:25], v[18:19], v[22:23]
	v_cndmask_b32_e32 v21, 0, v21, vcc_lo
	v_cndmask_b32_e32 v20, 0, v20, vcc_lo
	v_add_f64 v[32:33], v[22:23], -v[26:27]
	v_add_f64 v[28:29], v[24:25], v[20:21]
	v_add_f64 v[8:9], v[24:25], -v[18:19]
	v_add_f64 v[38:39], v[22:23], -v[32:33]
	;; [unrolled: 1-line block ×3, first 2 shown]
	v_cmp_gt_f64_e32 vcc_lo, 0, v[28:29]
	v_add_f64 v[28:29], v[26:27], -v[30:31]
	s_and_b32 s5, vcc_lo, exec_lo
	s_cselect_b32 s5, 0x40100000, 0
	v_add_f64 v[36:37], v[26:27], -v[28:29]
	v_add_f64 v[20:21], v[20:21], s[4:5]
	v_add_f64 v[4:5], v[4:5], -v[28:29]
	v_add_f64 v[26:27], v[26:27], -v[38:39]
	;; [unrolled: 1-line block ×3, first 2 shown]
	v_add_f64 v[34:35], v[24:25], v[20:21]
	v_add_f64 v[6:7], v[6:7], v[26:27]
	;; [unrolled: 1-line block ×3, first 2 shown]
	v_cvt_i32_f64_e32 v34, v[34:35]
	v_add_f64 v[4:5], v[4:5], v[6:7]
	v_cvt_f64_i32_e32 v[32:33], v34
	v_add_f64 v[6:7], v[22:23], -v[8:9]
	v_add_f64 v[2:3], v[2:3], v[4:5]
	v_add_f64 v[20:21], v[20:21], -v[32:33]
	v_add_f64 v[2:3], v[6:7], v[2:3]
	v_add_f64 v[18:19], v[24:25], v[20:21]
	v_add_f64 v[4:5], v[18:19], -v[20:21]
	v_cmp_le_f64_e32 vcc_lo, 0.5, v[18:19]
	v_add_f64 v[4:5], v[24:25], -v[4:5]
	s_and_b32 s5, vcc_lo, exec_lo
	s_cselect_b32 s5, 0x3ff00000, 0
	v_add_co_ci_u32_e64 v6, null, 0, v34, vcc_lo
	v_add_f64 v[2:3], v[2:3], v[4:5]
	v_add_f64 v[4:5], v[18:19], -s[4:5]
	v_add_f64 v[7:8], v[4:5], v[2:3]
	v_mul_f64 v[18:19], v[7:8], s[8:9]
	v_add_f64 v[4:5], v[7:8], -v[4:5]
	v_fma_f64 v[20:21], v[7:8], s[8:9], -v[18:19]
	v_add_f64 v[2:3], v[2:3], -v[4:5]
	v_fma_f64 v[4:5], v[7:8], s[12:13], v[20:21]
	v_fma_f64 v[4:5], v[2:3], s[8:9], v[4:5]
	v_add_f64 v[2:3], v[18:19], v[4:5]
	v_add_f64 v[7:8], v[2:3], -v[18:19]
	v_add_f64 v[4:5], v[4:5], -v[7:8]
	s_cbranch_execz .LBB2_16
	s_branch .LBB2_17
.LBB2_15:
                                        ; implicit-def: $vgpr6
                                        ; implicit-def: $vgpr2_vgpr3
                                        ; implicit-def: $vgpr4_vgpr5
.LBB2_16:
	s_mov_b32 s4, 0x6dc9c883
	s_mov_b32 s5, 0x3fe45f30
	;; [unrolled: 1-line block ×3, first 2 shown]
	v_mul_f64 v[2:3], |s[6:7]|, s[4:5]
	s_mov_b32 s4, 0x54442d18
	s_mov_b32 s5, 0xbff921fb
	;; [unrolled: 1-line block ×3, first 2 shown]
	v_rndne_f64_e32 v[6:7], v[2:3]
	v_fma_f64 v[2:3], v[6:7], s[4:5], |s[6:7]|
	v_mul_f64 v[4:5], v[6:7], s[8:9]
	s_mov_b32 s4, 0x252049c0
	s_mov_b32 s5, 0xb97b839a
	v_fma_f64 v[18:19], v[6:7], s[8:9], v[2:3]
	v_add_f64 v[8:9], v[2:3], v[4:5]
	s_mov_b32 s9, 0x3c91a626
	v_add_f64 v[2:3], v[2:3], -v[8:9]
	v_add_f64 v[8:9], v[8:9], -v[18:19]
	v_add_f64 v[2:3], v[2:3], v[4:5]
	v_fma_f64 v[4:5], v[6:7], s[8:9], v[4:5]
	v_add_f64 v[2:3], v[8:9], v[2:3]
	v_add_f64 v[2:3], v[2:3], -v[4:5]
	v_fma_f64 v[4:5], v[6:7], s[4:5], v[2:3]
	v_cvt_i32_f64_e32 v6, v[6:7]
	v_add_f64 v[2:3], v[18:19], v[4:5]
	v_add_f64 v[8:9], v[2:3], -v[18:19]
	v_add_f64 v[4:5], v[4:5], -v[8:9]
.LBB2_17:
	v_mul_f64 v[7:8], v[2:3], v[2:3]
	s_mov_b32 s4, 0xb42fdfa7
	s_mov_b32 s8, 0xf9a43bb8
	;; [unrolled: 1-line block ×4, first 2 shown]
	v_mul_f64 v[20:21], v[14:15], v[14:15]
	s_mov_b32 s14, 0x796cde01
	s_mov_b32 s15, 0x3ec71de3
	;; [unrolled: 1-line block ×6, first 2 shown]
	v_mul_f64 v[34:35], v[4:5], 0.5
	v_mul_f64 v[42:43], v[16:17], 0.5
	v_and_b32_e32 v9, 1, v6
	s_bitcmp0_b32 s1, 0
	v_cmp_eq_u32_e32 vcc_lo, 0, v9
	v_fma_f64 v[18:19], v[7:8], s[8:9], s[4:5]
	v_fma_f64 v[24:25], v[7:8], s[16:17], s[12:13]
	v_mul_f64 v[26:27], v[7:8], 0.5
	v_mul_f64 v[36:37], v[2:3], -v[7:8]
	v_fma_f64 v[22:23], v[20:21], s[8:9], s[4:5]
	s_mov_b32 s8, 0x19e83e5c
	s_mov_b32 s9, 0xbf2a01a0
	;; [unrolled: 1-line block ×4, first 2 shown]
	v_mul_f64 v[28:29], v[20:21], 0.5
	v_fma_f64 v[30:31], v[20:21], s[16:17], s[12:13]
	s_mov_b32 s12, 0x19f4ec90
	s_mov_b32 s13, 0x3efa01a0
	v_mul_f64 v[44:45], v[14:15], -v[20:21]
	v_fma_f64 v[18:19], v[7:8], v[18:19], s[14:15]
	v_fma_f64 v[24:25], v[7:8], v[24:25], s[4:5]
	v_add_f64 v[32:33], -v[26:27], 1.0
	v_fma_f64 v[22:23], v[20:21], v[22:23], s[14:15]
	s_mov_b32 s14, 0x11110bb3
	s_mov_b32 s15, 0x3f811111
	v_add_f64 v[38:39], -v[28:29], 1.0
	v_fma_f64 v[30:31], v[20:21], v[30:31], s[4:5]
	s_mov_b32 s4, 0x16c16967
	s_mov_b32 s5, 0xbf56c16c
	v_fma_f64 v[18:19], v[7:8], v[18:19], s[8:9]
	v_fma_f64 v[24:25], v[7:8], v[24:25], s[12:13]
	v_add_f64 v[40:41], -v[32:33], 1.0
	v_fma_f64 v[22:23], v[20:21], v[22:23], s[8:9]
	s_mov_b32 s8, 0x55555555
	s_mov_b32 s9, 0x3fa55555
	v_add_f64 v[46:47], -v[38:39], 1.0
	v_fma_f64 v[30:31], v[20:21], v[30:31], s[12:13]
	v_fma_f64 v[18:19], v[7:8], v[18:19], s[14:15]
	;; [unrolled: 1-line block ×3, first 2 shown]
	v_add_f64 v[26:27], v[40:41], -v[26:27]
	v_fma_f64 v[22:23], v[20:21], v[22:23], s[14:15]
	v_add_f64 v[28:29], v[46:47], -v[28:29]
	v_fma_f64 v[30:31], v[20:21], v[30:31], s[4:5]
	s_mov_b32 s5, 0xbfc55555
	s_mov_b32 s4, s8
	v_fma_f64 v[18:19], v[36:37], v[18:19], v[34:35]
	v_mul_f64 v[34:35], v[7:8], v[7:8]
	v_fma_f64 v[22:23], v[44:45], v[22:23], v[42:43]
	v_fma_f64 v[28:29], v[14:15], -v[16:17], v[28:29]
	v_fma_f64 v[18:19], v[7:8], v[18:19], -v[4:5]
	v_fma_f64 v[7:8], v[7:8], v[24:25], s[8:9]
	v_fma_f64 v[4:5], v[2:3], -v[4:5], v[26:27]
	v_mul_f64 v[24:25], v[20:21], v[20:21]
	v_fma_f64 v[26:27], v[20:21], v[30:31], s[8:9]
	v_fma_f64 v[16:17], v[20:21], v[22:23], -v[16:17]
	v_fma_f64 v[18:19], v[36:37], s[4:5], v[18:19]
	v_fma_f64 v[4:5], v[34:35], v[7:8], v[4:5]
	;; [unrolled: 1-line block ×4, first 2 shown]
	v_add_f64 v[2:3], v[2:3], -v[18:19]
	v_lshlrev_b32_e32 v18, 30, v6
	v_add_f64 v[4:5], v[32:33], v[4:5]
	v_add_f64 v[6:7], v[38:39], v[7:8]
	v_add_f64 v[8:9], v[14:15], -v[16:17]
	v_xor_b32_e32 v3, 0x80000000, v3
	v_cndmask_b32_e32 v2, v2, v4, vcc_lo
	v_and_b32_e32 v4, 0x80000000, v18
	v_cndmask_b32_e32 v3, v3, v5, vcc_lo
	s_cselect_b32 vcc_lo, -1, 0
	v_cndmask_b32_e64 v2, 0, v2, s0
	s_lshl_b32 s1, s1, 30
	v_cndmask_b32_e32 v5, v7, v9, vcc_lo
	v_xor_b32_e32 v3, v3, v4
	s_xor_b32 s1, s1, s7
	v_cndmask_b32_e32 v4, v6, v8, vcc_lo
	s_and_b32 s1, s1, 0x80000000
	s_waitcnt lgkmcnt(0)
	v_add_co_u32 v0, vcc_lo, s2, v0
	v_cndmask_b32_e64 v3, 0x7ff80000, v3, s0
	v_xor_b32_e32 v5, s1, v5
	v_cndmask_b32_e64 v4, 0, v4, s0
	v_add_co_ci_u32_e64 v1, null, s3, v1, vcc_lo
	v_mul_f64 v[2:3], v[10:11], v[2:3]
	v_cndmask_b32_e64 v5, 0x7ff80000, v5, s0
	v_fma_f64 v[2:3], v[12:13], v[4:5], v[2:3]
	v_add_f64 v[2:3], s[10:11], v[2:3]
	global_store_dwordx2 v[0:1], v[2:3], off
.LBB2_18:
	s_endpgm
	.section	.rodata,"a",@progbits
	.p2align	6, 0x0
	.amdhsa_kernel _Z19rot_detector_kernelPdS_PKdS1_dddi
		.amdhsa_group_segment_fixed_size 0
		.amdhsa_private_segment_fixed_size 0
		.amdhsa_kernarg_size 320
		.amdhsa_user_sgpr_count 6
		.amdhsa_user_sgpr_private_segment_buffer 1
		.amdhsa_user_sgpr_dispatch_ptr 0
		.amdhsa_user_sgpr_queue_ptr 0
		.amdhsa_user_sgpr_kernarg_segment_ptr 1
		.amdhsa_user_sgpr_dispatch_id 0
		.amdhsa_user_sgpr_flat_scratch_init 0
		.amdhsa_user_sgpr_private_segment_size 0
		.amdhsa_wavefront_size32 1
		.amdhsa_uses_dynamic_stack 0
		.amdhsa_system_sgpr_private_segment_wavefront_offset 0
		.amdhsa_system_sgpr_workgroup_id_x 1
		.amdhsa_system_sgpr_workgroup_id_y 0
		.amdhsa_system_sgpr_workgroup_id_z 0
		.amdhsa_system_sgpr_workgroup_info 0
		.amdhsa_system_vgpr_workitem_id 0
		.amdhsa_next_free_vgpr 55
		.amdhsa_next_free_sgpr 18
		.amdhsa_reserve_vcc 1
		.amdhsa_reserve_flat_scratch 0
		.amdhsa_float_round_mode_32 0
		.amdhsa_float_round_mode_16_64 0
		.amdhsa_float_denorm_mode_32 3
		.amdhsa_float_denorm_mode_16_64 3
		.amdhsa_dx10_clamp 1
		.amdhsa_ieee_mode 1
		.amdhsa_fp16_overflow 0
		.amdhsa_workgroup_processor_mode 1
		.amdhsa_memory_ordered 1
		.amdhsa_forward_progress 1
		.amdhsa_shared_vgpr_count 0
		.amdhsa_exception_fp_ieee_invalid_op 0
		.amdhsa_exception_fp_denorm_src 0
		.amdhsa_exception_fp_ieee_div_zero 0
		.amdhsa_exception_fp_ieee_overflow 0
		.amdhsa_exception_fp_ieee_underflow 0
		.amdhsa_exception_fp_ieee_inexact 0
		.amdhsa_exception_int_div_zero 0
	.end_amdhsa_kernel
	.text
.Lfunc_end2:
	.size	_Z19rot_detector_kernelPdS_PKdS1_dddi, .Lfunc_end2-_Z19rot_detector_kernelPdS_PKdS1_dddi
                                        ; -- End function
	.set _Z19rot_detector_kernelPdS_PKdS1_dddi.num_vgpr, 55
	.set _Z19rot_detector_kernelPdS_PKdS1_dddi.num_agpr, 0
	.set _Z19rot_detector_kernelPdS_PKdS1_dddi.numbered_sgpr, 18
	.set _Z19rot_detector_kernelPdS_PKdS1_dddi.num_named_barrier, 0
	.set _Z19rot_detector_kernelPdS_PKdS1_dddi.private_seg_size, 0
	.set _Z19rot_detector_kernelPdS_PKdS1_dddi.uses_vcc, 1
	.set _Z19rot_detector_kernelPdS_PKdS1_dddi.uses_flat_scratch, 0
	.set _Z19rot_detector_kernelPdS_PKdS1_dddi.has_dyn_sized_stack, 0
	.set _Z19rot_detector_kernelPdS_PKdS1_dddi.has_recursion, 0
	.set _Z19rot_detector_kernelPdS_PKdS1_dddi.has_indirect_call, 0
	.section	.AMDGPU.csdata,"",@progbits
; Kernel info:
; codeLenInByte = 4904
; TotalNumSgprs: 20
; NumVgprs: 55
; ScratchSize: 0
; MemoryBound: 0
; FloatMode: 240
; IeeeMode: 1
; LDSByteSize: 0 bytes/workgroup (compile time only)
; SGPRBlocks: 0
; VGPRBlocks: 6
; NumSGPRsForWavesPerEU: 20
; NumVGPRsForWavesPerEU: 55
; Occupancy: 16
; WaveLimiterHint : 0
; COMPUTE_PGM_RSRC2:SCRATCH_EN: 0
; COMPUTE_PGM_RSRC2:USER_SGPR: 6
; COMPUTE_PGM_RSRC2:TRAP_HANDLER: 0
; COMPUTE_PGM_RSRC2:TGID_X_EN: 1
; COMPUTE_PGM_RSRC2:TGID_Y_EN: 0
; COMPUTE_PGM_RSRC2:TGID_Z_EN: 0
; COMPUTE_PGM_RSRC2:TIDIG_COMP_CNT: 0
	.text
	.protected	_Z19mapDet2Slice_kernelPdS_dddPKdS1_S1_S1_iii ; -- Begin function _Z19mapDet2Slice_kernelPdS_dddPKdS1_S1_S1_iii
	.globl	_Z19mapDet2Slice_kernelPdS_dddPKdS1_S1_S1_iii
	.p2align	8
	.type	_Z19mapDet2Slice_kernelPdS_dddPKdS1_S1_S1_iii,@function
_Z19mapDet2Slice_kernelPdS_dddPKdS1_S1_S1_iii: ; @_Z19mapDet2Slice_kernelPdS_dddPKdS1_S1_S1_iii
; %bb.0:
	s_clause 0x1
	s_load_dword s8, s[4:5], 0x64
	s_load_dwordx4 s[0:3], s[4:5], 0x48
	s_waitcnt lgkmcnt(0)
	s_lshr_b32 s3, s8, 16
	s_and_b32 s8, s8, 0xffff
	v_mad_u64_u32 v[2:3], null, s6, s8, v[0:1]
	v_mad_u64_u32 v[0:1], null, s7, s3, v[1:2]
	v_cmp_gt_i32_e32 vcc_lo, s1, v2
	v_cmp_gt_i32_e64 s0, s0, v0
	s_and_b32 s0, vcc_lo, s0
	s_and_saveexec_b32 s3, s0
	s_cbranch_execz .LBB3_3
; %bb.1:
	s_clause 0x1
	s_load_dwordx8 s[8:15], s[4:5], 0x10
	s_load_dwordx4 s[16:19], s[4:5], 0x38
	v_ashrrev_i32_e32 v1, 31, v0
	v_mad_u64_u32 v[9:10], null, v0, s1, v[2:3]
	v_ashrrev_i32_e32 v3, 31, v2
	s_ashr_i32 s3, s2, 31
	v_lshlrev_b64 v[4:5], 3, v[0:1]
	s_lshl_b64 s[0:1], s[2:3], 3
	v_lshlrev_b64 v[1:2], 3, v[2:3]
	s_waitcnt lgkmcnt(0)
	v_add_co_u32 v3, vcc_lo, s14, v4
	v_add_co_ci_u32_e64 v4, null, s15, v5, vcc_lo
	v_add_co_u32 v5, vcc_lo, s16, v1
	v_add_co_ci_u32_e64 v6, null, s17, v2, vcc_lo
	global_load_dwordx2 v[10:11], v[3:4], off
	global_load_dwordx2 v[5:6], v[5:6], off
	s_add_u32 s0, s18, s0
	s_addc_u32 s1, s19, s1
	s_load_dwordx2 s[0:1], s[0:1], 0x0
	s_waitcnt vmcnt(1)
	v_add_f64 v[3:4], v[10:11], -s[8:9]
	s_waitcnt vmcnt(0) lgkmcnt(0)
	v_add_f64 v[7:8], s[0:1], -v[5:6]
	v_mul_f64 v[12:13], s[12:13], v[10:11]
	s_load_dwordx2 s[0:1], s[4:5], 0x0
	v_fma_f64 v[12:13], v[3:4], v[7:8], -v[12:13]
	v_add_f64 v[3:4], v[5:6], -s[12:13]
	v_fma_f64 v[10:11], v[10:11], v[5:6], v[12:13]
	v_div_scale_f64 v[12:13], null, v[3:4], v[3:4], v[10:11]
	v_rcp_f64_e32 v[14:15], v[12:13]
	v_fma_f64 v[16:17], -v[12:13], v[14:15], 1.0
	v_fma_f64 v[14:15], v[14:15], v[16:17], v[14:15]
	v_fma_f64 v[16:17], -v[12:13], v[14:15], 1.0
	v_fma_f64 v[14:15], v[14:15], v[16:17], v[14:15]
	v_div_scale_f64 v[16:17], vcc_lo, v[10:11], v[3:4], v[10:11]
	v_mul_f64 v[18:19], v[16:17], v[14:15]
	v_fma_f64 v[12:13], -v[12:13], v[18:19], v[16:17]
	v_div_fmas_f64 v[12:13], v[12:13], v[14:15], v[18:19]
	v_div_fixup_f64 v[11:12], v[12:13], v[3:4], v[10:11]
	v_ashrrev_i32_e32 v10, 31, v9
	v_lshlrev_b64 v[9:10], 3, v[9:10]
	s_waitcnt lgkmcnt(0)
	v_add_co_u32 v9, vcc_lo, s0, v9
	v_add_co_ci_u32_e64 v10, null, s1, v10, vcc_lo
	v_cmp_eq_u32_e32 vcc_lo, 0, v0
	global_store_dwordx2 v[9:10], v[11:12], off
	s_and_b32 exec_lo, exec_lo, vcc_lo
	s_cbranch_execz .LBB3_3
; %bb.2:
	s_load_dwordx2 s[0:1], s[4:5], 0x30
	s_waitcnt lgkmcnt(0)
	v_add_co_u32 v9, vcc_lo, s0, v1
	v_add_co_ci_u32_e64 v10, null, s1, v2, vcc_lo
	s_load_dwordx2 s[0:1], s[4:5], 0x8
	global_load_dwordx2 v[9:10], v[9:10], off
	s_waitcnt vmcnt(0)
	v_add_f64 v[11:12], v[9:10], -s[10:11]
	v_mul_f64 v[13:14], s[12:13], v[9:10]
	v_fma_f64 v[7:8], v[7:8], v[11:12], -v[13:14]
	v_fma_f64 v[5:6], v[5:6], v[9:10], v[7:8]
	v_div_scale_f64 v[7:8], null, v[3:4], v[3:4], v[5:6]
	v_rcp_f64_e32 v[9:10], v[7:8]
	v_fma_f64 v[11:12], -v[7:8], v[9:10], 1.0
	v_fma_f64 v[9:10], v[9:10], v[11:12], v[9:10]
	v_fma_f64 v[11:12], -v[7:8], v[9:10], 1.0
	v_fma_f64 v[9:10], v[9:10], v[11:12], v[9:10]
	v_div_scale_f64 v[11:12], vcc_lo, v[5:6], v[3:4], v[5:6]
	v_mul_f64 v[13:14], v[11:12], v[9:10]
	v_fma_f64 v[7:8], -v[7:8], v[13:14], v[11:12]
	v_div_fmas_f64 v[7:8], v[7:8], v[9:10], v[13:14]
	s_waitcnt lgkmcnt(0)
	v_add_co_u32 v0, vcc_lo, s0, v1
	v_add_co_ci_u32_e64 v1, null, s1, v2, vcc_lo
	v_div_fixup_f64 v[3:4], v[7:8], v[3:4], v[5:6]
	global_store_dwordx2 v[0:1], v[3:4], off
.LBB3_3:
	s_endpgm
	.section	.rodata,"a",@progbits
	.p2align	6, 0x0
	.amdhsa_kernel _Z19mapDet2Slice_kernelPdS_dddPKdS1_S1_S1_iii
		.amdhsa_group_segment_fixed_size 0
		.amdhsa_private_segment_fixed_size 0
		.amdhsa_kernarg_size 344
		.amdhsa_user_sgpr_count 6
		.amdhsa_user_sgpr_private_segment_buffer 1
		.amdhsa_user_sgpr_dispatch_ptr 0
		.amdhsa_user_sgpr_queue_ptr 0
		.amdhsa_user_sgpr_kernarg_segment_ptr 1
		.amdhsa_user_sgpr_dispatch_id 0
		.amdhsa_user_sgpr_flat_scratch_init 0
		.amdhsa_user_sgpr_private_segment_size 0
		.amdhsa_wavefront_size32 1
		.amdhsa_uses_dynamic_stack 0
		.amdhsa_system_sgpr_private_segment_wavefront_offset 0
		.amdhsa_system_sgpr_workgroup_id_x 1
		.amdhsa_system_sgpr_workgroup_id_y 1
		.amdhsa_system_sgpr_workgroup_id_z 0
		.amdhsa_system_sgpr_workgroup_info 0
		.amdhsa_system_vgpr_workitem_id 1
		.amdhsa_next_free_vgpr 20
		.amdhsa_next_free_sgpr 20
		.amdhsa_reserve_vcc 1
		.amdhsa_reserve_flat_scratch 0
		.amdhsa_float_round_mode_32 0
		.amdhsa_float_round_mode_16_64 0
		.amdhsa_float_denorm_mode_32 3
		.amdhsa_float_denorm_mode_16_64 3
		.amdhsa_dx10_clamp 1
		.amdhsa_ieee_mode 1
		.amdhsa_fp16_overflow 0
		.amdhsa_workgroup_processor_mode 1
		.amdhsa_memory_ordered 1
		.amdhsa_forward_progress 1
		.amdhsa_shared_vgpr_count 0
		.amdhsa_exception_fp_ieee_invalid_op 0
		.amdhsa_exception_fp_denorm_src 0
		.amdhsa_exception_fp_ieee_div_zero 0
		.amdhsa_exception_fp_ieee_overflow 0
		.amdhsa_exception_fp_ieee_underflow 0
		.amdhsa_exception_fp_ieee_inexact 0
		.amdhsa_exception_int_div_zero 0
	.end_amdhsa_kernel
	.text
.Lfunc_end3:
	.size	_Z19mapDet2Slice_kernelPdS_dddPKdS1_S1_S1_iii, .Lfunc_end3-_Z19mapDet2Slice_kernelPdS_dddPKdS1_S1_S1_iii
                                        ; -- End function
	.set _Z19mapDet2Slice_kernelPdS_dddPKdS1_S1_S1_iii.num_vgpr, 20
	.set _Z19mapDet2Slice_kernelPdS_dddPKdS1_S1_S1_iii.num_agpr, 0
	.set _Z19mapDet2Slice_kernelPdS_dddPKdS1_S1_S1_iii.numbered_sgpr, 20
	.set _Z19mapDet2Slice_kernelPdS_dddPKdS1_S1_S1_iii.num_named_barrier, 0
	.set _Z19mapDet2Slice_kernelPdS_dddPKdS1_S1_S1_iii.private_seg_size, 0
	.set _Z19mapDet2Slice_kernelPdS_dddPKdS1_S1_S1_iii.uses_vcc, 1
	.set _Z19mapDet2Slice_kernelPdS_dddPKdS1_S1_S1_iii.uses_flat_scratch, 0
	.set _Z19mapDet2Slice_kernelPdS_dddPKdS1_S1_S1_iii.has_dyn_sized_stack, 0
	.set _Z19mapDet2Slice_kernelPdS_dddPKdS1_S1_S1_iii.has_recursion, 0
	.set _Z19mapDet2Slice_kernelPdS_dddPKdS1_S1_S1_iii.has_indirect_call, 0
	.section	.AMDGPU.csdata,"",@progbits
; Kernel info:
; codeLenInByte = 600
; TotalNumSgprs: 22
; NumVgprs: 20
; ScratchSize: 0
; MemoryBound: 0
; FloatMode: 240
; IeeeMode: 1
; LDSByteSize: 0 bytes/workgroup (compile time only)
; SGPRBlocks: 0
; VGPRBlocks: 2
; NumSGPRsForWavesPerEU: 22
; NumVGPRsForWavesPerEU: 20
; Occupancy: 16
; WaveLimiterHint : 0
; COMPUTE_PGM_RSRC2:SCRATCH_EN: 0
; COMPUTE_PGM_RSRC2:USER_SGPR: 6
; COMPUTE_PGM_RSRC2:TRAP_HANDLER: 0
; COMPUTE_PGM_RSRC2:TGID_X_EN: 1
; COMPUTE_PGM_RSRC2:TGID_Y_EN: 1
; COMPUTE_PGM_RSRC2:TGID_Z_EN: 0
; COMPUTE_PGM_RSRC2:TIDIG_COMP_CNT: 1
	.text
	.protected	_Z22img_integration_kernelPdiibiii ; -- Begin function _Z22img_integration_kernelPdiibiii
	.globl	_Z22img_integration_kernelPdiibiii
	.p2align	8
	.type	_Z22img_integration_kernelPdiibiii,@function
_Z22img_integration_kernelPdiibiii:     ; @_Z22img_integration_kernelPdiibiii
; %bb.0:
	s_clause 0x2
	s_load_dwordx2 s[0:1], s[4:5], 0x2c
	s_load_dwordx4 s[12:15], s[4:5], 0x8
	s_load_dwordx2 s[2:3], s[4:5], 0x18
	s_waitcnt lgkmcnt(0)
	s_lshr_b32 s9, s0, 16
	s_and_b32 s10, s0, 0xffff
	s_and_b32 s0, s1, 0xffff
	v_mad_u64_u32 v[5:6], null, s6, s10, v[0:1]
	v_mad_u64_u32 v[0:1], null, s7, s9, v[1:2]
	;; [unrolled: 1-line block ×3, first 2 shown]
	v_add_nc_u32_e32 v2, s15, v5
	v_add_nc_u32_e32 v1, s2, v0
	v_cmp_gt_i32_e64 s1, s3, v3
	v_cmp_gt_i32_e32 vcc_lo, s13, v2
	v_cmp_gt_i32_e64 s0, s12, v1
	s_and_b32 s0, vcc_lo, s0
	s_and_b32 s0, s1, s0
	s_and_saveexec_b32 s1, s0
	s_cbranch_execz .LBB4_13
; %bb.1:
	s_load_dwordx2 s[0:1], s[4:5], 0x0
	s_bitcmp1_b32 s14, 0
	s_cselect_b32 s3, -1, 0
	s_and_b32 vcc_lo, exec_lo, s3
	s_mov_b32 s3, -1
	s_cbranch_vccnz .LBB4_7
; %bb.2:
	s_cmp_eq_u32 s10, 0
	s_mov_b32 s3, 0
	s_cbranch_scc1 .LBB4_7
; %bb.3:
	v_mad_u64_u32 v[6:7], null, v3, s12, v[1:2]
	s_mov_b32 s4, 1
	v_mul_lo_u32 v4, v6, s13
	v_add_nc_u32_e32 v6, v4, v2
	v_add_nc_u32_e32 v4, s15, v4
	v_ashrrev_i32_e32 v7, 31, v6
	v_lshlrev_b64 v[6:7], 3, v[6:7]
	s_waitcnt lgkmcnt(0)
	v_add_co_u32 v6, vcc_lo, s0, v6
	v_add_co_ci_u32_e64 v7, null, s1, v7, vcc_lo
	s_inst_prefetch 0x1
	s_branch .LBB4_5
	.p2align	6
.LBB4_4:                                ;   in Loop: Header=BB4_5 Depth=1
	s_or_b32 exec_lo, exec_lo, s5
	s_lshl_b32 s4, s4, 1
	s_cmp_le_u32 s4, s10
	s_cbranch_scc0 .LBB4_7
.LBB4_5:                                ; =>This Inner Loop Header: Depth=1
	v_subrev_nc_u32_e32 v8, s4, v5
	s_mov_b32 s5, exec_lo
	v_cmpx_lt_i32_e32 -1, v8
	s_cbranch_execz .LBB4_4
; %bb.6:                                ;   in Loop: Header=BB4_5 Depth=1
	v_add_nc_u32_e32 v8, v4, v8
	v_ashrrev_i32_e32 v9, 31, v8
	v_lshlrev_b64 v[8:9], 3, v[8:9]
	v_add_co_u32 v8, vcc_lo, s0, v8
	v_add_co_ci_u32_e64 v9, null, s1, v9, vcc_lo
	s_clause 0x1
	global_load_dwordx2 v[8:9], v[8:9], off
	global_load_dwordx2 v[10:11], v[6:7], off
	s_waitcnt vmcnt(0)
	v_add_f64 v[8:9], v[8:9], v[10:11]
	global_store_dwordx2 v[6:7], v[8:9], off
	s_branch .LBB4_4
.LBB4_7:
	s_inst_prefetch 0x2
	s_andn2_b32 vcc_lo, exec_lo, s3
	s_cbranch_vccnz .LBB4_13
; %bb.8:
	s_cmp_eq_u32 s9, 0
	s_cbranch_scc1 .LBB4_13
; %bb.9:
	v_mul_lo_u32 v3, s13, v3
	s_mov_b32 s3, 1
	v_mad_u64_u32 v[2:3], null, v3, s12, v[2:3]
	v_mad_u64_u32 v[3:4], null, v1, s13, v[2:3]
	v_ashrrev_i32_e32 v4, 31, v3
	v_lshlrev_b64 v[3:4], 3, v[3:4]
	s_waitcnt lgkmcnt(0)
	v_add_co_u32 v3, vcc_lo, s0, v3
	v_add_co_ci_u32_e64 v4, null, s1, v4, vcc_lo
	s_inst_prefetch 0x1
	s_branch .LBB4_11
	.p2align	6
.LBB4_10:                               ;   in Loop: Header=BB4_11 Depth=1
	s_or_b32 exec_lo, exec_lo, s4
	s_lshl_b32 s3, s3, 1
	s_cmp_gt_u32 s3, s9
	s_cbranch_scc1 .LBB4_13
.LBB4_11:                               ; =>This Inner Loop Header: Depth=1
	v_subrev_nc_u32_e32 v1, s3, v0
	s_mov_b32 s4, exec_lo
	v_cmpx_lt_i32_e32 -1, v1
	s_cbranch_execz .LBB4_10
; %bb.12:                               ;   in Loop: Header=BB4_11 Depth=1
	v_add_nc_u32_e32 v1, s2, v1
	v_mad_u64_u32 v[5:6], null, v1, s13, v[2:3]
	v_ashrrev_i32_e32 v6, 31, v5
	v_lshlrev_b64 v[5:6], 3, v[5:6]
	v_add_co_u32 v5, vcc_lo, s0, v5
	v_add_co_ci_u32_e64 v6, null, s1, v6, vcc_lo
	s_clause 0x1
	global_load_dwordx2 v[5:6], v[5:6], off
	global_load_dwordx2 v[7:8], v[3:4], off
	s_waitcnt vmcnt(0)
	v_add_f64 v[5:6], v[5:6], v[7:8]
	global_store_dwordx2 v[3:4], v[5:6], off
	s_branch .LBB4_10
.LBB4_13:
	s_inst_prefetch 0x2
	s_endpgm
	.section	.rodata,"a",@progbits
	.p2align	6, 0x0
	.amdhsa_kernel _Z22img_integration_kernelPdiibiii
		.amdhsa_group_segment_fixed_size 0
		.amdhsa_private_segment_fixed_size 0
		.amdhsa_kernarg_size 288
		.amdhsa_user_sgpr_count 6
		.amdhsa_user_sgpr_private_segment_buffer 1
		.amdhsa_user_sgpr_dispatch_ptr 0
		.amdhsa_user_sgpr_queue_ptr 0
		.amdhsa_user_sgpr_kernarg_segment_ptr 1
		.amdhsa_user_sgpr_dispatch_id 0
		.amdhsa_user_sgpr_flat_scratch_init 0
		.amdhsa_user_sgpr_private_segment_size 0
		.amdhsa_wavefront_size32 1
		.amdhsa_uses_dynamic_stack 0
		.amdhsa_system_sgpr_private_segment_wavefront_offset 0
		.amdhsa_system_sgpr_workgroup_id_x 1
		.amdhsa_system_sgpr_workgroup_id_y 1
		.amdhsa_system_sgpr_workgroup_id_z 1
		.amdhsa_system_sgpr_workgroup_info 0
		.amdhsa_system_vgpr_workitem_id 2
		.amdhsa_next_free_vgpr 12
		.amdhsa_next_free_sgpr 16
		.amdhsa_reserve_vcc 1
		.amdhsa_reserve_flat_scratch 0
		.amdhsa_float_round_mode_32 0
		.amdhsa_float_round_mode_16_64 0
		.amdhsa_float_denorm_mode_32 3
		.amdhsa_float_denorm_mode_16_64 3
		.amdhsa_dx10_clamp 1
		.amdhsa_ieee_mode 1
		.amdhsa_fp16_overflow 0
		.amdhsa_workgroup_processor_mode 1
		.amdhsa_memory_ordered 1
		.amdhsa_forward_progress 1
		.amdhsa_shared_vgpr_count 0
		.amdhsa_exception_fp_ieee_invalid_op 0
		.amdhsa_exception_fp_denorm_src 0
		.amdhsa_exception_fp_ieee_div_zero 0
		.amdhsa_exception_fp_ieee_overflow 0
		.amdhsa_exception_fp_ieee_underflow 0
		.amdhsa_exception_fp_ieee_inexact 0
		.amdhsa_exception_int_div_zero 0
	.end_amdhsa_kernel
	.text
.Lfunc_end4:
	.size	_Z22img_integration_kernelPdiibiii, .Lfunc_end4-_Z22img_integration_kernelPdiibiii
                                        ; -- End function
	.set _Z22img_integration_kernelPdiibiii.num_vgpr, 12
	.set _Z22img_integration_kernelPdiibiii.num_agpr, 0
	.set _Z22img_integration_kernelPdiibiii.numbered_sgpr, 16
	.set _Z22img_integration_kernelPdiibiii.num_named_barrier, 0
	.set _Z22img_integration_kernelPdiibiii.private_seg_size, 0
	.set _Z22img_integration_kernelPdiibiii.uses_vcc, 1
	.set _Z22img_integration_kernelPdiibiii.uses_flat_scratch, 0
	.set _Z22img_integration_kernelPdiibiii.has_dyn_sized_stack, 0
	.set _Z22img_integration_kernelPdiibiii.has_recursion, 0
	.set _Z22img_integration_kernelPdiibiii.has_indirect_call, 0
	.section	.AMDGPU.csdata,"",@progbits
; Kernel info:
; codeLenInByte = 636
; TotalNumSgprs: 18
; NumVgprs: 12
; ScratchSize: 0
; MemoryBound: 0
; FloatMode: 240
; IeeeMode: 1
; LDSByteSize: 0 bytes/workgroup (compile time only)
; SGPRBlocks: 0
; VGPRBlocks: 1
; NumSGPRsForWavesPerEU: 18
; NumVGPRsForWavesPerEU: 12
; Occupancy: 16
; WaveLimiterHint : 0
; COMPUTE_PGM_RSRC2:SCRATCH_EN: 0
; COMPUTE_PGM_RSRC2:USER_SGPR: 6
; COMPUTE_PGM_RSRC2:TRAP_HANDLER: 0
; COMPUTE_PGM_RSRC2:TGID_X_EN: 1
; COMPUTE_PGM_RSRC2:TGID_Y_EN: 1
; COMPUTE_PGM_RSRC2:TGID_Z_EN: 1
; COMPUTE_PGM_RSRC2:TIDIG_COMP_CNT: 2
	.text
	.protected	_Z29bilinear_interpolation_kernelPdPKdS1_S1_S1_S1_iiiiiii ; -- Begin function _Z29bilinear_interpolation_kernelPdPKdS1_S1_S1_S1_iiiiiii
	.globl	_Z29bilinear_interpolation_kernelPdPKdS1_S1_S1_S1_iiiiiii
	.p2align	8
	.type	_Z29bilinear_interpolation_kernelPdPKdS1_S1_S1_S1_iiiiiii,@function
_Z29bilinear_interpolation_kernelPdPKdS1_S1_S1_S1_iiiiiii: ; @_Z29bilinear_interpolation_kernelPdPKdS1_S1_S1_S1_iiiiiii
; %bb.0:
	s_clause 0x1
	s_load_dword s0, s[4:5], 0x5c
	s_load_dwordx4 s[16:19], s[4:5], 0x30
	s_waitcnt lgkmcnt(0)
	s_lshr_b32 s1, s0, 16
	s_and_b32 s0, s0, 0xffff
	v_mad_u64_u32 v[2:3], null, s6, s0, v[0:1]
	v_mad_u64_u32 v[0:1], null, s7, s1, v[1:2]
	v_cmp_gt_i32_e32 vcc_lo, s17, v2
	v_cmp_gt_i32_e64 s0, s16, v0
	s_and_b32 s0, vcc_lo, s0
	s_and_saveexec_b32 s1, s0
	s_cbranch_execz .LBB5_14
; %bb.1:
	s_load_dwordx8 s[8:15], s[4:5], 0x8
	v_ashrrev_i32_e32 v1, 31, v0
	v_ashrrev_i32_e32 v3, 31, v2
	v_lshlrev_b64 v[4:5], 3, v[0:1]
	v_lshlrev_b64 v[6:7], 3, v[2:3]
	s_waitcnt lgkmcnt(0)
	v_add_co_u32 v3, vcc_lo, s10, v4
	v_add_co_ci_u32_e64 v4, null, s11, v5, vcc_lo
	v_add_co_u32 v5, vcc_lo, s12, v6
	v_add_co_ci_u32_e64 v6, null, s13, v7, vcc_lo
	global_load_dwordx2 v[3:4], v[3:4], off
	global_load_dwordx2 v[5:6], v[5:6], off
	s_load_dwordx2 s[0:1], s[4:5], 0x28
	s_load_dwordx2 s[2:3], s[14:15], 0x0
	s_load_dwordx4 s[12:15], s[4:5], 0x40
	s_waitcnt lgkmcnt(0)
	s_load_dwordx2 s[6:7], s[0:1], 0x0
	s_waitcnt lgkmcnt(0)
	v_div_scale_f64 v[11:12], null, s[2:3], s[2:3], s[6:7]
	v_rcp_f64_e32 v[17:18], v[11:12]
	v_fma_f64 v[23:24], -v[11:12], v[17:18], 1.0
	v_fma_f64 v[17:18], v[17:18], v[23:24], v[17:18]
	v_fma_f64 v[23:24], -v[11:12], v[17:18], 1.0
	v_fma_f64 v[17:18], v[17:18], v[23:24], v[17:18]
	s_waitcnt vmcnt(1)
	v_div_scale_f64 v[7:8], null, s[2:3], s[2:3], v[3:4]
	s_waitcnt vmcnt(0)
	v_div_scale_f64 v[9:10], null, s[2:3], s[2:3], v[5:6]
	v_div_scale_f64 v[25:26], vcc_lo, v[3:4], s[2:3], v[3:4]
	v_rcp_f64_e32 v[13:14], v[7:8]
	v_rcp_f64_e32 v[15:16], v[9:10]
	v_fma_f64 v[19:20], -v[7:8], v[13:14], 1.0
	v_fma_f64 v[21:22], -v[9:10], v[15:16], 1.0
	v_fma_f64 v[13:14], v[13:14], v[19:20], v[13:14]
	v_fma_f64 v[15:16], v[15:16], v[21:22], v[15:16]
	v_fma_f64 v[19:20], -v[7:8], v[13:14], 1.0
	v_fma_f64 v[21:22], -v[9:10], v[15:16], 1.0
	v_fma_f64 v[13:14], v[13:14], v[19:20], v[13:14]
	v_div_scale_f64 v[19:20], s0, v[5:6], s[2:3], v[5:6]
	v_fma_f64 v[15:16], v[15:16], v[21:22], v[15:16]
	v_div_scale_f64 v[21:22], s1, s[6:7], s[2:3], s[6:7]
	v_mul_f64 v[23:24], v[25:26], v[13:14]
	v_mul_f64 v[27:28], v[19:20], v[15:16]
	;; [unrolled: 1-line block ×3, first 2 shown]
	v_fma_f64 v[7:8], -v[7:8], v[23:24], v[25:26]
	v_fma_f64 v[9:10], -v[9:10], v[27:28], v[19:20]
	;; [unrolled: 1-line block ×3, first 2 shown]
	v_div_fmas_f64 v[7:8], v[7:8], v[13:14], v[23:24]
	s_mov_b32 vcc_lo, s0
	v_div_fmas_f64 v[9:10], v[9:10], v[15:16], v[27:28]
	s_mov_b32 vcc_lo, s1
	v_div_fmas_f64 v[14:15], v[11:12], v[17:18], v[29:30]
	v_cvt_f64_i32_e32 v[12:13], s12
	v_div_fixup_f64 v[3:4], v[7:8], s[2:3], v[3:4]
	v_div_fixup_f64 v[7:8], v[9:10], s[2:3], v[5:6]
	;; [unrolled: 1-line block ×3, first 2 shown]
	v_cvt_f64_i32_e32 v[15:16], s13
	v_add_f64 v[5:6], v[12:13], -v[3:4]
	v_add_f64 v[3:4], v[7:8], -v[9:10]
	v_floor_f64_e32 v[7:8], v[5:6]
	v_cmp_le_f64_e32 vcc_lo, 0, v[5:6]
	v_floor_f64_e32 v[9:10], v[3:4]
	v_cvt_i32_f64_e32 v7, v[7:8]
	v_cvt_i32_f64_e32 v1, v[9:10]
	v_mov_b32_e32 v8, 0
	v_mov_b32_e32 v10, 0
	;; [unrolled: 1-line block ×4, first 2 shown]
	s_and_saveexec_b32 s3, vcc_lo
	s_cbranch_execz .LBB5_5
; %bb.2:
	v_cmp_le_f64_e64 s0, v[5:6], v[12:13]
	v_cmp_le_f64_e64 s1, v[3:4], v[15:16]
	v_cmp_le_f64_e64 s2, 0, v[3:4]
	v_mov_b32_e32 v10, 0
	v_mov_b32_e32 v11, 0
	s_and_b32 s0, s0, s1
	s_and_b32 s0, s0, s2
	s_and_saveexec_b32 s1, s0
	s_cbranch_execz .LBB5_4
; %bb.3:
	v_mad_u64_u32 v[10:11], null, s14, s18, v[7:8]
	v_mad_u64_u32 v[10:11], null, v10, s19, v[1:2]
	v_ashrrev_i32_e32 v11, 31, v10
	v_lshlrev_b64 v[10:11], 3, v[10:11]
	v_add_co_u32 v10, s0, s8, v10
	v_add_co_ci_u32_e64 v11, null, s9, v11, s0
	global_load_dwordx2 v[10:11], v[10:11], off
.LBB5_4:
	s_or_b32 exec_lo, exec_lo, s1
.LBB5_5:
	s_or_b32 exec_lo, exec_lo, s3
	v_add_nc_u32_e32 v14, 1, v7
	v_cmp_lt_i32_e64 s0, -1, v7
	s_and_saveexec_b32 s6, s0
	s_cbranch_execz .LBB5_9
; %bb.6:
	v_cmp_le_f64_e64 s1, 0, v[3:4]
	v_cmp_le_f64_e64 s2, v[3:4], v[15:16]
	v_cmp_gt_i32_e64 s3, s12, v7
	v_mov_b32_e32 v8, 0
	v_mov_b32_e32 v9, 0
	s_and_b32 s1, s3, s1
	s_and_b32 s1, s2, s1
	s_and_saveexec_b32 s2, s1
	s_cbranch_execz .LBB5_8
; %bb.7:
	v_mad_u64_u32 v[8:9], null, s14, s18, v[14:15]
	v_mad_u64_u32 v[8:9], null, v8, s19, v[1:2]
	v_ashrrev_i32_e32 v9, 31, v8
	v_lshlrev_b64 v[8:9], 3, v[8:9]
	v_add_co_u32 v8, s1, s8, v8
	v_add_co_ci_u32_e64 v9, null, s9, v9, s1
	global_load_dwordx2 v[8:9], v[8:9], off
.LBB5_8:
	s_or_b32 exec_lo, exec_lo, s2
.LBB5_9:
	s_or_b32 exec_lo, exec_lo, s6
	v_cmp_le_f64_e64 s1, v[5:6], v[12:13]
	s_load_dwordx2 s[4:5], s[4:5], 0x0
	v_cmp_lt_i32_e64 s2, -1, v1
	v_cmp_gt_i32_e64 s3, s13, v1
	v_mov_b32_e32 v12, 0
	v_mov_b32_e32 v15, 0
	;; [unrolled: 1-line block ×4, first 2 shown]
	s_and_b32 s6, vcc_lo, s1
	s_and_b32 s1, s2, s3
	s_and_b32 s3, s6, s1
	s_and_saveexec_b32 s2, s3
	s_cbranch_execz .LBB5_11
; %bb.10:
	s_waitcnt vmcnt(0)
	v_mad_u64_u32 v[15:16], null, s14, s18, v[7:8]
	v_mul_lo_u32 v15, v15, s19
	v_add3_u32 v15, v1, v15, 1
	v_ashrrev_i32_e32 v16, 31, v15
	v_lshlrev_b64 v[15:16], 3, v[15:16]
	v_add_co_u32 v15, vcc_lo, s8, v15
	v_add_co_ci_u32_e64 v16, null, s9, v16, vcc_lo
	global_load_dwordx2 v[15:16], v[15:16], off
.LBB5_11:
	s_or_b32 exec_lo, exec_lo, s2
	v_cmp_gt_i32_e32 vcc_lo, s12, v7
	s_and_b32 s0, s0, vcc_lo
	s_and_b32 s1, s0, s1
	s_and_saveexec_b32 s0, s1
	s_cbranch_execz .LBB5_13
; %bb.12:
	s_waitcnt vmcnt(0)
	v_mad_u64_u32 v[12:13], null, s14, s18, v[14:15]
	v_mul_lo_u32 v12, v12, s19
	v_add3_u32 v12, v1, v12, 1
	v_ashrrev_i32_e32 v13, 31, v12
	v_lshlrev_b64 v[12:13], 3, v[12:13]
	v_add_co_u32 v12, vcc_lo, s8, v12
	v_add_co_ci_u32_e64 v13, null, s9, v13, vcc_lo
	global_load_dwordx2 v[12:13], v[12:13], off
.LBB5_13:
	s_or_b32 exec_lo, exec_lo, s0
	v_cvt_f64_i32_e32 v[17:18], v7
	v_add_f64 v[5:6], v[5:6], -v[17:18]
	v_cvt_f64_i32_e32 v[17:18], v1
	s_waitcnt vmcnt(0)
	v_fma_f64 v[10:11], -v[5:6], v[10:11], v[10:11]
	v_add_f64 v[3:4], v[3:4], -v[17:18]
	v_fma_f64 v[14:15], -v[5:6], v[15:16], v[15:16]
	v_fma_f64 v[7:8], v[5:6], v[8:9], v[10:11]
	v_mad_u64_u32 v[0:1], null, v0, s17, v[2:3]
	v_fma_f64 v[5:6], v[5:6], v[12:13], v[14:15]
	v_ashrrev_i32_e32 v1, 31, v0
	v_lshlrev_b64 v[0:1], 3, v[0:1]
	s_waitcnt lgkmcnt(0)
	v_add_co_u32 v0, vcc_lo, s4, v0
	v_fma_f64 v[7:8], -v[3:4], v[7:8], v[7:8]
	v_add_co_ci_u32_e64 v1, null, s5, v1, vcc_lo
	v_fma_f64 v[2:3], v[3:4], v[5:6], v[7:8]
	global_store_dwordx2 v[0:1], v[2:3], off
.LBB5_14:
	s_endpgm
	.section	.rodata,"a",@progbits
	.p2align	6, 0x0
	.amdhsa_kernel _Z29bilinear_interpolation_kernelPdPKdS1_S1_S1_S1_iiiiiii
		.amdhsa_group_segment_fixed_size 0
		.amdhsa_private_segment_fixed_size 0
		.amdhsa_kernarg_size 336
		.amdhsa_user_sgpr_count 6
		.amdhsa_user_sgpr_private_segment_buffer 1
		.amdhsa_user_sgpr_dispatch_ptr 0
		.amdhsa_user_sgpr_queue_ptr 0
		.amdhsa_user_sgpr_kernarg_segment_ptr 1
		.amdhsa_user_sgpr_dispatch_id 0
		.amdhsa_user_sgpr_flat_scratch_init 0
		.amdhsa_user_sgpr_private_segment_size 0
		.amdhsa_wavefront_size32 1
		.amdhsa_uses_dynamic_stack 0
		.amdhsa_system_sgpr_private_segment_wavefront_offset 0
		.amdhsa_system_sgpr_workgroup_id_x 1
		.amdhsa_system_sgpr_workgroup_id_y 1
		.amdhsa_system_sgpr_workgroup_id_z 0
		.amdhsa_system_sgpr_workgroup_info 0
		.amdhsa_system_vgpr_workitem_id 1
		.amdhsa_next_free_vgpr 31
		.amdhsa_next_free_sgpr 20
		.amdhsa_reserve_vcc 1
		.amdhsa_reserve_flat_scratch 0
		.amdhsa_float_round_mode_32 0
		.amdhsa_float_round_mode_16_64 0
		.amdhsa_float_denorm_mode_32 3
		.amdhsa_float_denorm_mode_16_64 3
		.amdhsa_dx10_clamp 1
		.amdhsa_ieee_mode 1
		.amdhsa_fp16_overflow 0
		.amdhsa_workgroup_processor_mode 1
		.amdhsa_memory_ordered 1
		.amdhsa_forward_progress 1
		.amdhsa_shared_vgpr_count 0
		.amdhsa_exception_fp_ieee_invalid_op 0
		.amdhsa_exception_fp_denorm_src 0
		.amdhsa_exception_fp_ieee_div_zero 0
		.amdhsa_exception_fp_ieee_overflow 0
		.amdhsa_exception_fp_ieee_underflow 0
		.amdhsa_exception_fp_ieee_inexact 0
		.amdhsa_exception_int_div_zero 0
	.end_amdhsa_kernel
	.text
.Lfunc_end5:
	.size	_Z29bilinear_interpolation_kernelPdPKdS1_S1_S1_S1_iiiiiii, .Lfunc_end5-_Z29bilinear_interpolation_kernelPdPKdS1_S1_S1_S1_iiiiiii
                                        ; -- End function
	.set _Z29bilinear_interpolation_kernelPdPKdS1_S1_S1_S1_iiiiiii.num_vgpr, 31
	.set _Z29bilinear_interpolation_kernelPdPKdS1_S1_S1_S1_iiiiiii.num_agpr, 0
	.set _Z29bilinear_interpolation_kernelPdPKdS1_S1_S1_S1_iiiiiii.numbered_sgpr, 20
	.set _Z29bilinear_interpolation_kernelPdPKdS1_S1_S1_S1_iiiiiii.num_named_barrier, 0
	.set _Z29bilinear_interpolation_kernelPdPKdS1_S1_S1_S1_iiiiiii.private_seg_size, 0
	.set _Z29bilinear_interpolation_kernelPdPKdS1_S1_S1_S1_iiiiiii.uses_vcc, 1
	.set _Z29bilinear_interpolation_kernelPdPKdS1_S1_S1_S1_iiiiiii.uses_flat_scratch, 0
	.set _Z29bilinear_interpolation_kernelPdPKdS1_S1_S1_S1_iiiiiii.has_dyn_sized_stack, 0
	.set _Z29bilinear_interpolation_kernelPdPKdS1_S1_S1_S1_iiiiiii.has_recursion, 0
	.set _Z29bilinear_interpolation_kernelPdPKdS1_S1_S1_S1_iiiiiii.has_indirect_call, 0
	.section	.AMDGPU.csdata,"",@progbits
; Kernel info:
; codeLenInByte = 1124
; TotalNumSgprs: 22
; NumVgprs: 31
; ScratchSize: 0
; MemoryBound: 0
; FloatMode: 240
; IeeeMode: 1
; LDSByteSize: 0 bytes/workgroup (compile time only)
; SGPRBlocks: 0
; VGPRBlocks: 3
; NumSGPRsForWavesPerEU: 22
; NumVGPRsForWavesPerEU: 31
; Occupancy: 16
; WaveLimiterHint : 0
; COMPUTE_PGM_RSRC2:SCRATCH_EN: 0
; COMPUTE_PGM_RSRC2:USER_SGPR: 6
; COMPUTE_PGM_RSRC2:TRAP_HANDLER: 0
; COMPUTE_PGM_RSRC2:TGID_X_EN: 1
; COMPUTE_PGM_RSRC2:TGID_Y_EN: 1
; COMPUTE_PGM_RSRC2:TGID_Z_EN: 0
; COMPUTE_PGM_RSRC2:TIDIG_COMP_CNT: 1
	.text
	.protected	_Z22differentiation_kernelPdPKddddS1_S1_S1_iiiidddddi ; -- Begin function _Z22differentiation_kernelPdPKddddS1_S1_S1_iiiidddddi
	.globl	_Z22differentiation_kernelPdPKddddS1_S1_S1_iiiidddddi
	.p2align	8
	.type	_Z22differentiation_kernelPdPKddddS1_S1_S1_iiiidddddi,@function
_Z22differentiation_kernelPdPKddddS1_S1_S1_iiiidddddi: ; @_Z22differentiation_kernelPdPKddddS1_S1_S1_iiiidddddi
; %bb.0:
	s_clause 0x1
	s_load_dword s0, s[4:5], 0x8c
	s_load_dwordx2 s[2:3], s[4:5], 0x40
	s_waitcnt lgkmcnt(0)
	s_lshr_b32 s1, s0, 16
	s_and_b32 s0, s0, 0xffff
	v_mad_u64_u32 v[10:11], null, s7, s1, v[1:2]
	v_mad_u64_u32 v[8:9], null, s6, s0, v[0:1]
	v_cmp_gt_i32_e64 s0, s2, v10
	v_cmp_gt_i32_e32 vcc_lo, s3, v8
	s_and_b32 s0, vcc_lo, s0
	s_and_saveexec_b32 s1, s0
	s_cbranch_execz .LBB6_10
; %bb.1:
	s_clause 0x2
	s_load_dword s0, s[4:5], 0x4c
	s_load_dwordx4 s[24:27], s[4:5], 0x30
	s_load_dwordx8 s[16:23], s[4:5], 0x10
	s_waitcnt lgkmcnt(0)
	v_mad_u64_u32 v[0:1], null, v10, s0, v[8:9]
	v_ashrrev_i32_e32 v9, 31, v8
	v_lshlrev_b64 v[1:2], 3, v[8:9]
                                        ; implicit-def: $vgpr9
	v_add_co_u32 v1, vcc_lo, s24, v1
	v_add_co_ci_u32_e64 v2, null, s25, v2, vcc_lo
	global_load_dwordx2 v[1:2], v[1:2], off
	s_clause 0x1
	s_load_dword s6, s[4:5], 0x78
	s_load_dwordx8 s[8:15], s[4:5], 0x50
	s_waitcnt lgkmcnt(0)
	s_ashr_i32 s7, s6, 31
	s_lshl_b64 s[24:25], s[6:7], 3
	s_add_u32 s24, s26, s24
	s_addc_u32 s25, s27, s25
	s_load_dwordx2 s[24:25], s[24:25], 0x0
	s_waitcnt lgkmcnt(0)
	v_add_f64 v[17:18], s[20:21], -s[24:25]
	s_mov_b32 s20, 0xb5e68a13
	s_mov_b32 s21, 0x3eeba404
	s_waitcnt vmcnt(0)
	v_fma_f64 v[1:2], s[14:15], 0.5, v[1:2]
	v_add_f64 v[1:2], v[1:2], -s[18:19]
	s_mov_b32 s18, 0xbd3237f4
	s_mov_b32 s19, 0xbf23e260
	v_div_scale_f64 v[3:4], null, v[17:18], v[17:18], v[1:2]
	v_div_scale_f64 v[13:14], vcc_lo, v[1:2], v[17:18], v[1:2]
	v_rcp_f64_e32 v[5:6], v[3:4]
	v_fma_f64 v[11:12], -v[3:4], v[5:6], 1.0
	v_fma_f64 v[5:6], v[5:6], v[11:12], v[5:6]
	v_fma_f64 v[11:12], -v[3:4], v[5:6], 1.0
	v_fma_f64 v[5:6], v[5:6], v[11:12], v[5:6]
	v_mul_f64 v[11:12], v[13:14], v[5:6]
	v_fma_f64 v[3:4], -v[3:4], v[11:12], v[13:14]
	v_div_fmas_f64 v[3:4], v[3:4], v[5:6], v[11:12]
	v_div_fixup_f64 v[1:2], v[3:4], v[17:18], v[1:2]
	v_and_b32_e32 v4, 0x7fffffff, v2
	v_mov_b32_e32 v3, v1
	v_div_scale_f64 v[5:6], null, v[3:4], v[3:4], 1.0
	v_div_scale_f64 v[15:16], vcc_lo, 1.0, v[3:4], 1.0
	v_rcp_f64_e32 v[11:12], v[5:6]
	v_fma_f64 v[13:14], -v[5:6], v[11:12], 1.0
	v_fma_f64 v[11:12], v[11:12], v[13:14], v[11:12]
	v_fma_f64 v[13:14], -v[5:6], v[11:12], 1.0
	v_fma_f64 v[11:12], v[11:12], v[13:14], v[11:12]
	v_mul_f64 v[13:14], v[15:16], v[11:12]
	v_fma_f64 v[5:6], -v[5:6], v[13:14], v[15:16]
	v_div_fmas_f64 v[5:6], v[5:6], v[11:12], v[13:14]
	v_cmp_gt_f64_e64 vcc_lo, |v[1:2]|, 1.0
	v_ashrrev_i32_e32 v11, 31, v10
	v_div_fixup_f64 v[5:6], v[5:6], |v[1:2]|, 1.0
	v_cndmask_b32_e32 v13, v4, v6, vcc_lo
	v_cndmask_b32_e32 v12, v1, v5, vcc_lo
	v_add_nc_u32_e32 v4, s0, v0
	s_mov_b32 s0, 0xe82d3ff0
	s_mov_b32 s1, 0xbfa59976
	v_lshlrev_b64 v[6:7], 3, v[10:11]
	v_mul_f64 v[14:15], v[12:13], v[12:13]
	v_ashrrev_i32_e32 v5, 31, v4
	v_lshlrev_b64 v[4:5], 3, v[4:5]
	v_fma_f64 v[1:2], v[14:15], s[20:21], s[18:19]
	s_mov_b32 s18, 0x69efb384
	s_mov_b32 s19, 0x3f4b2bb0
	v_fma_f64 v[1:2], v[14:15], v[1:2], s[18:19]
	s_mov_b32 s18, 0xaf56de9b
	s_mov_b32 s19, 0xbf67952d
	;; [unrolled: 3-line block ×7, first 2 shown]
	v_fma_f64 v[2:3], v[14:15], v[1:2], s[18:19]
	s_load_dwordx2 s[18:19], s[4:5], 0x8
	v_ashrrev_i32_e32 v1, 31, v0
	v_lshlrev_b64 v[0:1], 3, v[0:1]
	v_fma_f64 v[21:22], v[14:15], v[2:3], s[0:1]
	v_add_co_u32 v2, s0, s22, v6
	v_add_co_ci_u32_e64 v3, null, s23, v7, s0
	s_waitcnt lgkmcnt(0)
	v_add_co_u32 v0, s0, s18, v0
	v_add_co_ci_u32_e64 v1, null, s19, v1, s0
	v_add_co_u32 v4, s0, s18, v4
	v_add_co_ci_u32_e64 v5, null, s19, v5, s0
	global_load_dwordx2 v[19:20], v[2:3], off
	s_clause 0x1
	global_load_dwordx4 v[0:3], v[0:1], off
	global_load_dwordx4 v[4:7], v[4:5], off
	s_mov_b32 s0, 0x6ef28734
	s_mov_b32 s1, 0x3fa82d5d
	;; [unrolled: 1-line block ×4, first 2 shown]
	v_fma_f64 v[21:22], v[14:15], v[21:22], s[0:1]
	s_mov_b32 s0, 0x6a214619
	s_mov_b32 s1, 0xbfaae5ce
	v_fma_f64 v[21:22], v[14:15], v[21:22], s[0:1]
	s_mov_b32 s0, 0x8427b883
	s_mov_b32 s1, 0x3fae1bb4
	;; [unrolled: 3-line block ×10, first 2 shown]
	v_mul_f64 v[14:15], v[14:15], v[21:22]
	v_fma_f64 v[11:12], v[12:13], v[14:15], v[12:13]
                                        ; implicit-def: $vgpr15_vgpr16
	v_fma_f64 v[13:14], s[18:19], s[0:1], -v[11:12]
	s_load_dwordx2 s[18:19], s[4:5], 0x70
	v_cndmask_b32_e32 v12, v12, v14, vcc_lo
	v_cndmask_b32_e32 v11, v11, v13, vcc_lo
                                        ; implicit-def: $vgpr13_vgpr14
	v_cmp_ngt_f64_e64 s0, 0x41d00000, |v[11:12]|
	s_and_saveexec_b32 s1, s0
	s_xor_b32 s0, exec_lo, s1
	s_cbranch_execz .LBB6_3
; %bb.2:
	v_ldexp_f64 v[13:14], |v[11:12]|, 0xffffff80
	v_cmp_le_f64_e64 vcc_lo, 0x7b000000, |v[11:12]|
	v_trig_preop_f64 v[15:16], |v[11:12]|, 0
	v_and_b32_e32 v9, 0x7fffffff, v12
	v_trig_preop_f64 v[21:22], |v[11:12]|, 1
	v_trig_preop_f64 v[31:32], |v[11:12]|, 2
	v_mov_b32_e32 v39, 0
	s_mov_b32 s20, 0x54442d18
	s_mov_b32 s21, 0x3ff921fb
	;; [unrolled: 1-line block ×4, first 2 shown]
	v_cndmask_b32_e32 v14, v9, v14, vcc_lo
	v_cndmask_b32_e32 v13, v11, v13, vcc_lo
	v_mul_f64 v[23:24], v[15:16], v[13:14]
	v_mul_f64 v[25:26], v[21:22], v[13:14]
	;; [unrolled: 1-line block ×3, first 2 shown]
	v_fma_f64 v[15:16], v[15:16], v[13:14], -v[23:24]
	v_fma_f64 v[21:22], v[21:22], v[13:14], -v[25:26]
	;; [unrolled: 1-line block ×3, first 2 shown]
	v_add_f64 v[27:28], v[25:26], v[15:16]
	v_add_f64 v[29:30], v[27:28], -v[25:26]
	v_add_f64 v[35:36], v[23:24], v[27:28]
	v_add_f64 v[33:34], v[27:28], -v[29:30]
	v_add_f64 v[15:16], v[15:16], -v[29:30]
	v_ldexp_f64 v[29:30], v[35:36], -2
	v_add_f64 v[23:24], v[35:36], -v[23:24]
	v_add_f64 v[25:26], v[25:26], -v[33:34]
	v_add_f64 v[33:34], v[37:38], v[21:22]
	v_cmp_neq_f64_e64 vcc_lo, 0x7ff00000, |v[29:30]|
	v_add_f64 v[23:24], v[27:28], -v[23:24]
	v_add_f64 v[15:16], v[15:16], v[25:26]
	v_fract_f64_e32 v[25:26], v[29:30]
	v_add_f64 v[27:28], v[33:34], v[15:16]
	v_ldexp_f64 v[25:26], v[25:26], 2
	v_add_f64 v[29:30], v[23:24], v[27:28]
	v_cndmask_b32_e32 v26, 0, v26, vcc_lo
	v_cndmask_b32_e32 v25, 0, v25, vcc_lo
	v_add_f64 v[35:36], v[29:30], v[25:26]
	v_add_f64 v[23:24], v[29:30], -v[23:24]
	v_cmp_gt_f64_e32 vcc_lo, 0, v[35:36]
	v_add_f64 v[35:36], v[33:34], -v[37:38]
	v_add_f64 v[23:24], v[27:28], -v[23:24]
	v_cndmask_b32_e64 v40, 0, 0x40100000, vcc_lo
	v_add_f64 v[44:45], v[33:34], -v[35:36]
	v_add_f64 v[21:22], v[21:22], -v[35:36]
	v_add_f64 v[25:26], v[25:26], v[39:40]
	v_add_f64 v[40:41], v[27:28], -v[33:34]
	v_add_f64 v[35:36], v[37:38], -v[44:45]
	v_add_f64 v[42:43], v[29:30], v[25:26]
	;; [unrolled: 3-line block ×3, first 2 shown]
	v_cvt_i32_f64_e32 v9, v[42:43]
	v_add_f64 v[33:34], v[33:34], -v[46:47]
	v_cvt_f64_i32_e32 v[40:41], v9
	v_add_f64 v[15:16], v[15:16], v[33:34]
	v_add_f64 v[25:26], v[25:26], -v[40:41]
	v_add_f64 v[15:16], v[21:22], v[15:16]
	v_add_f64 v[21:22], v[29:30], v[25:26]
	;; [unrolled: 1-line block ×3, first 2 shown]
	v_add_f64 v[15:16], v[21:22], -v[25:26]
	v_cmp_le_f64_e32 vcc_lo, 0.5, v[21:22]
	v_add_f64 v[13:14], v[23:24], v[13:14]
	v_add_f64 v[15:16], v[29:30], -v[15:16]
	v_cndmask_b32_e64 v40, 0, 0x3ff00000, vcc_lo
	v_add_co_ci_u32_e64 v9, null, 0, v9, vcc_lo
	v_add_f64 v[13:14], v[13:14], v[15:16]
	v_add_f64 v[15:16], v[21:22], -v[39:40]
	v_add_f64 v[21:22], v[15:16], v[13:14]
	v_mul_f64 v[23:24], v[21:22], s[20:21]
	v_add_f64 v[15:16], v[21:22], -v[15:16]
	v_fma_f64 v[25:26], v[21:22], s[20:21], -v[23:24]
	v_add_f64 v[13:14], v[13:14], -v[15:16]
	v_fma_f64 v[15:16], v[21:22], s[22:23], v[25:26]
	v_fma_f64 v[15:16], v[13:14], s[20:21], v[15:16]
	v_add_f64 v[13:14], v[23:24], v[15:16]
	v_add_f64 v[21:22], v[13:14], -v[23:24]
	v_add_f64 v[15:16], v[15:16], -v[21:22]
.LBB6_3:
	s_andn2_saveexec_b32 s0, s0
	s_cbranch_execz .LBB6_5
; %bb.4:
	s_mov_b32 s20, 0x6dc9c883
	s_mov_b32 s21, 0x3fe45f30
	;; [unrolled: 1-line block ×3, first 2 shown]
	v_mul_f64 v[13:14], |v[11:12]|, s[20:21]
	s_mov_b32 s20, 0x54442d18
	s_mov_b32 s21, 0xbff921fb
	;; [unrolled: 1-line block ×3, first 2 shown]
	v_rndne_f64_e32 v[21:22], v[13:14]
	v_fma_f64 v[13:14], v[21:22], s[20:21], |v[11:12]|
	v_mul_f64 v[15:16], v[21:22], s[22:23]
	s_mov_b32 s20, 0x252049c0
	s_mov_b32 s21, 0xb97b839a
	v_cvt_i32_f64_e32 v9, v[21:22]
	v_fma_f64 v[25:26], v[21:22], s[22:23], v[13:14]
	v_add_f64 v[23:24], v[13:14], v[15:16]
	s_mov_b32 s23, 0x3c91a626
	v_add_f64 v[13:14], v[13:14], -v[23:24]
	v_add_f64 v[23:24], v[23:24], -v[25:26]
	v_add_f64 v[13:14], v[13:14], v[15:16]
	v_fma_f64 v[15:16], v[21:22], s[22:23], v[15:16]
	v_add_f64 v[13:14], v[23:24], v[13:14]
	v_add_f64 v[13:14], v[13:14], -v[15:16]
	v_fma_f64 v[15:16], v[21:22], s[20:21], v[13:14]
	v_add_f64 v[13:14], v[25:26], v[15:16]
	v_add_f64 v[23:24], v[13:14], -v[25:26]
	v_add_f64 v[15:16], v[15:16], -v[23:24]
.LBB6_5:
	s_or_b32 exec_lo, exec_lo, s0
	s_waitcnt vmcnt(2)
	v_fma_f64 v[19:20], s[12:13], 0.5, v[19:20]
	s_mov_b32 s0, 0xbd3237f4
	s_mov_b32 s1, 0xbf23e260
	v_add_f64 v[19:20], v[19:20], -s[16:17]
	s_mov_b32 s16, 0xb5e68a13
	s_mov_b32 s17, 0x3eeba404
	v_div_scale_f64 v[21:22], null, v[17:18], v[17:18], v[19:20]
	v_div_scale_f64 v[27:28], vcc_lo, v[19:20], v[17:18], v[19:20]
	v_rcp_f64_e32 v[23:24], v[21:22]
	v_fma_f64 v[25:26], -v[21:22], v[23:24], 1.0
	v_fma_f64 v[23:24], v[23:24], v[25:26], v[23:24]
	v_fma_f64 v[25:26], -v[21:22], v[23:24], 1.0
	v_fma_f64 v[23:24], v[23:24], v[25:26], v[23:24]
	v_mul_f64 v[25:26], v[27:28], v[23:24]
	v_fma_f64 v[21:22], -v[21:22], v[25:26], v[27:28]
	v_div_fmas_f64 v[21:22], v[21:22], v[23:24], v[25:26]
	v_div_fixup_f64 v[17:18], v[21:22], v[17:18], v[19:20]
	v_and_b32_e32 v20, 0x7fffffff, v18
	v_mov_b32_e32 v19, v17
	v_div_scale_f64 v[21:22], null, v[19:20], v[19:20], 1.0
	v_div_scale_f64 v[27:28], vcc_lo, 1.0, v[19:20], 1.0
	v_rcp_f64_e32 v[23:24], v[21:22]
	v_fma_f64 v[25:26], -v[21:22], v[23:24], 1.0
	v_fma_f64 v[23:24], v[23:24], v[25:26], v[23:24]
	v_fma_f64 v[25:26], -v[21:22], v[23:24], 1.0
	v_fma_f64 v[23:24], v[23:24], v[25:26], v[23:24]
	v_mul_f64 v[25:26], v[27:28], v[23:24]
	v_fma_f64 v[21:22], -v[21:22], v[25:26], v[27:28]
	v_div_fmas_f64 v[21:22], v[21:22], v[23:24], v[25:26]
	v_cmp_gt_f64_e64 vcc_lo, |v[17:18]|, 1.0
                                        ; implicit-def: $vgpr23
	v_div_fixup_f64 v[21:22], v[21:22], |v[17:18]|, 1.0
	v_cndmask_b32_e32 v18, v20, v22, vcc_lo
	v_cndmask_b32_e32 v17, v17, v21, vcc_lo
	v_mul_f64 v[19:20], v[17:18], v[17:18]
	v_fma_f64 v[21:22], v[19:20], s[16:17], s[0:1]
	s_mov_b32 s0, 0x69efb384
	s_mov_b32 s1, 0x3f4b2bb0
	;; [unrolled: 1-line block ×4, first 2 shown]
	v_fma_f64 v[21:22], v[19:20], v[21:22], s[0:1]
	s_mov_b32 s0, 0xaf56de9b
	s_mov_b32 s1, 0xbf67952d
	v_fma_f64 v[21:22], v[19:20], v[21:22], s[0:1]
	s_mov_b32 s0, 0xa595c56f
	s_mov_b32 s1, 0x3f7d6d43
	;; [unrolled: 3-line block ×18, first 2 shown]
	v_mul_f64 v[19:20], v[19:20], v[21:22]
                                        ; implicit-def: $vgpr21_vgpr22
	v_fma_f64 v[17:18], v[17:18], v[19:20], v[17:18]
	v_fma_f64 v[19:20], s[16:17], s[0:1], -v[17:18]
	s_load_dwordx2 s[0:1], s[4:5], 0x0
	s_mov_b32 s4, exec_lo
	v_cndmask_b32_e32 v18, v18, v20, vcc_lo
	v_cndmask_b32_e32 v17, v17, v19, vcc_lo
                                        ; implicit-def: $vgpr19_vgpr20
	v_cmpx_ngt_f64_e64 0x41d00000, |v[17:18]|
	s_xor_b32 s4, exec_lo, s4
	s_cbranch_execz .LBB6_7
; %bb.6:
	v_ldexp_f64 v[19:20], |v[17:18]|, 0xffffff80
	v_cmp_le_f64_e64 vcc_lo, 0x7b000000, |v[17:18]|
	v_trig_preop_f64 v[21:22], |v[17:18]|, 0
	v_and_b32_e32 v23, 0x7fffffff, v18
	v_trig_preop_f64 v[33:34], |v[17:18]|, 2
	v_mov_b32_e32 v41, 0
	s_mov_b32 s16, 0x54442d18
	s_mov_b32 s17, 0x3ff921fb
	;; [unrolled: 1-line block ×4, first 2 shown]
	v_cndmask_b32_e32 v20, v23, v20, vcc_lo
	v_cndmask_b32_e32 v19, v17, v19, vcc_lo
	v_trig_preop_f64 v[23:24], |v[17:18]|, 1
	v_mul_f64 v[25:26], v[21:22], v[19:20]
	v_mul_f64 v[39:40], v[33:34], v[19:20]
	;; [unrolled: 1-line block ×3, first 2 shown]
	v_fma_f64 v[21:22], v[21:22], v[19:20], -v[25:26]
	v_fma_f64 v[23:24], v[23:24], v[19:20], -v[27:28]
	;; [unrolled: 1-line block ×3, first 2 shown]
	v_add_f64 v[29:30], v[27:28], v[21:22]
	v_add_f64 v[31:32], v[29:30], -v[27:28]
	v_add_f64 v[37:38], v[25:26], v[29:30]
	v_add_f64 v[35:36], v[29:30], -v[31:32]
	v_add_f64 v[21:22], v[21:22], -v[31:32]
	v_ldexp_f64 v[31:32], v[37:38], -2
	v_add_f64 v[25:26], v[37:38], -v[25:26]
	v_add_f64 v[27:28], v[27:28], -v[35:36]
	v_add_f64 v[35:36], v[39:40], v[23:24]
	v_cmp_neq_f64_e64 vcc_lo, 0x7ff00000, |v[31:32]|
	v_add_f64 v[25:26], v[29:30], -v[25:26]
	v_add_f64 v[21:22], v[21:22], v[27:28]
	v_fract_f64_e32 v[27:28], v[31:32]
	v_add_f64 v[29:30], v[35:36], v[21:22]
	v_ldexp_f64 v[27:28], v[27:28], 2
	v_add_f64 v[31:32], v[25:26], v[29:30]
	v_cndmask_b32_e32 v28, 0, v28, vcc_lo
	v_cndmask_b32_e32 v27, 0, v27, vcc_lo
	v_add_f64 v[37:38], v[31:32], v[27:28]
	v_add_f64 v[25:26], v[31:32], -v[25:26]
	v_cmp_gt_f64_e32 vcc_lo, 0, v[37:38]
	v_add_f64 v[37:38], v[35:36], -v[39:40]
	v_cndmask_b32_e64 v42, 0, 0x40100000, vcc_lo
	v_add_f64 v[46:47], v[35:36], -v[37:38]
	v_add_f64 v[23:24], v[23:24], -v[37:38]
	v_add_f64 v[27:28], v[27:28], v[41:42]
	v_add_f64 v[42:43], v[29:30], -v[35:36]
	v_add_f64 v[37:38], v[39:40], -v[46:47]
	v_add_f64 v[44:45], v[31:32], v[27:28]
	;; [unrolled: 3-line block ×3, first 2 shown]
	v_cvt_i32_f64_e32 v44, v[44:45]
	v_add_f64 v[35:36], v[35:36], -v[48:49]
	v_cvt_f64_i32_e32 v[42:43], v44
	v_add_f64 v[21:22], v[21:22], v[35:36]
	v_add_f64 v[27:28], v[27:28], -v[42:43]
	v_add_f64 v[21:22], v[23:24], v[21:22]
	v_add_f64 v[23:24], v[29:30], -v[25:26]
	v_add_f64 v[33:34], v[31:32], v[27:28]
	v_add_f64 v[19:20], v[19:20], v[21:22]
	v_add_f64 v[21:22], v[33:34], -v[27:28]
	v_cmp_le_f64_e32 vcc_lo, 0.5, v[33:34]
	v_add_f64 v[19:20], v[23:24], v[19:20]
	v_add_f64 v[21:22], v[31:32], -v[21:22]
	v_cndmask_b32_e64 v42, 0, 0x3ff00000, vcc_lo
	v_add_co_ci_u32_e64 v23, null, 0, v44, vcc_lo
	v_add_f64 v[19:20], v[19:20], v[21:22]
	v_add_f64 v[21:22], v[33:34], -v[41:42]
	v_add_f64 v[24:25], v[21:22], v[19:20]
	v_mul_f64 v[26:27], v[24:25], s[16:17]
	v_add_f64 v[21:22], v[24:25], -v[21:22]
	v_fma_f64 v[28:29], v[24:25], s[16:17], -v[26:27]
	v_add_f64 v[19:20], v[19:20], -v[21:22]
	v_fma_f64 v[21:22], v[24:25], s[20:21], v[28:29]
	v_fma_f64 v[21:22], v[19:20], s[16:17], v[21:22]
	v_add_f64 v[19:20], v[26:27], v[21:22]
	v_add_f64 v[24:25], v[19:20], -v[26:27]
	v_add_f64 v[21:22], v[21:22], -v[24:25]
.LBB6_7:
	s_andn2_saveexec_b32 s4, s4
	s_cbranch_execz .LBB6_9
; %bb.8:
	s_mov_b32 s16, 0x6dc9c883
	s_mov_b32 s17, 0x3fe45f30
	;; [unrolled: 1-line block ×3, first 2 shown]
	v_mul_f64 v[19:20], |v[17:18]|, s[16:17]
	s_mov_b32 s16, 0x54442d18
	s_mov_b32 s17, 0xbff921fb
	;; [unrolled: 1-line block ×3, first 2 shown]
	v_rndne_f64_e32 v[23:24], v[19:20]
	v_fma_f64 v[19:20], v[23:24], s[16:17], |v[17:18]|
	v_mul_f64 v[21:22], v[23:24], s[20:21]
	s_mov_b32 s16, 0x252049c0
	s_mov_b32 s17, 0xb97b839a
	v_fma_f64 v[27:28], v[23:24], s[20:21], v[19:20]
	v_add_f64 v[25:26], v[19:20], v[21:22]
	s_mov_b32 s21, 0x3c91a626
	v_add_f64 v[19:20], v[19:20], -v[25:26]
	v_add_f64 v[25:26], v[25:26], -v[27:28]
	v_add_f64 v[19:20], v[19:20], v[21:22]
	v_fma_f64 v[21:22], v[23:24], s[20:21], v[21:22]
	v_add_f64 v[19:20], v[25:26], v[19:20]
	v_add_f64 v[19:20], v[19:20], -v[21:22]
	v_fma_f64 v[21:22], v[23:24], s[16:17], v[19:20]
	v_cvt_i32_f64_e32 v23, v[23:24]
	v_add_f64 v[19:20], v[27:28], v[21:22]
	v_add_f64 v[25:26], v[19:20], -v[27:28]
	v_add_f64 v[21:22], v[21:22], -v[25:26]
.LBB6_9:
	s_or_b32 exec_lo, exec_lo, s4
	v_mul_f64 v[24:25], v[13:14], v[13:14]
	v_mul_f64 v[26:27], v[19:20], v[19:20]
	s_mov_b32 s4, 0xb42fdfa7
	s_mov_b32 s16, 0xf9a43bb8
	;; [unrolled: 1-line block ×6, first 2 shown]
	v_mul_f64 v[44:45], v[15:16], 0.5
	v_mul_f64 v[46:47], v[21:22], 0.5
	v_fma_f64 v[28:29], v[24:25], s[16:17], s[4:5]
	v_fma_f64 v[30:31], v[26:27], s[16:17], s[4:5]
	s_mov_b32 s4, 0x9037ab78
	s_mov_b32 s16, 0x46cc5e42
	;; [unrolled: 1-line block ×4, first 2 shown]
	v_mul_f64 v[34:35], v[24:25], 0.5
	v_mul_f64 v[38:39], v[26:27], 0.5
	v_fma_f64 v[32:33], v[24:25], s[16:17], s[4:5]
	v_fma_f64 v[36:37], v[26:27], s[16:17], s[4:5]
	s_mov_b32 s16, 0x19e83e5c
	s_mov_b32 s4, 0xa17f65f6
	;; [unrolled: 1-line block ×4, first 2 shown]
	v_mul_f64 v[48:49], v[13:14], -v[24:25]
	v_mul_f64 v[50:51], v[19:20], -v[26:27]
	v_fma_f64 v[28:29], v[24:25], v[28:29], s[20:21]
	v_fma_f64 v[30:31], v[26:27], v[30:31], s[20:21]
	v_add_f64 v[40:41], -v[34:35], 1.0
	v_add_f64 v[42:43], -v[38:39], 1.0
	v_fma_f64 v[32:33], v[24:25], v[32:33], s[4:5]
	v_fma_f64 v[36:37], v[26:27], v[36:37], s[4:5]
	s_mov_b32 s4, 0x19f4ec90
	s_mov_b32 s5, 0x3efa01a0
	v_fma_f64 v[28:29], v[24:25], v[28:29], s[16:17]
	v_fma_f64 v[30:31], v[26:27], v[30:31], s[16:17]
	s_mov_b32 s16, 0x11110bb3
	s_mov_b32 s17, 0x3f811111
	v_add_f64 v[52:53], -v[40:41], 1.0
	v_add_f64 v[54:55], -v[42:43], 1.0
	v_fma_f64 v[32:33], v[24:25], v[32:33], s[4:5]
	v_fma_f64 v[36:37], v[26:27], v[36:37], s[4:5]
	s_mov_b32 s4, 0x16c16967
	s_mov_b32 s5, 0xbf56c16c
	v_fma_f64 v[28:29], v[24:25], v[28:29], s[16:17]
	v_fma_f64 v[30:31], v[26:27], v[30:31], s[16:17]
	v_add_f64 v[34:35], v[52:53], -v[34:35]
	v_add_f64 v[38:39], v[54:55], -v[38:39]
	v_fma_f64 v[32:33], v[24:25], v[32:33], s[4:5]
	v_fma_f64 v[36:37], v[26:27], v[36:37], s[4:5]
	s_mov_b32 s4, 0x55555555
	s_mov_b32 s5, 0x3fa55555
	v_fma_f64 v[28:29], v[48:49], v[28:29], v[44:45]
	v_fma_f64 v[30:31], v[50:51], v[30:31], v[46:47]
	v_mul_f64 v[44:45], v[24:25], v[24:25]
	v_mul_f64 v[46:47], v[26:27], v[26:27]
	v_fma_f64 v[34:35], v[13:14], -v[15:16], v[34:35]
	v_fma_f64 v[32:33], v[24:25], v[32:33], s[4:5]
	v_fma_f64 v[15:16], v[24:25], v[28:29], -v[15:16]
	v_fma_f64 v[28:29], v[19:20], -v[21:22], v[38:39]
	v_fma_f64 v[21:22], v[26:27], v[30:31], -v[21:22]
	v_fma_f64 v[24:25], v[26:27], v[36:37], s[4:5]
	s_mov_b32 s5, 0xbfc55555
	v_fma_f64 v[26:27], v[44:45], v[32:33], v[34:35]
	v_fma_f64 v[15:16], v[48:49], s[4:5], v[15:16]
	v_fma_f64 v[21:22], v[50:51], s[4:5], v[21:22]
	v_fma_f64 v[24:25], v[46:47], v[24:25], v[28:29]
	v_mad_u64_u32 v[28:29], null, s6, s2, v[10:11]
	v_cmp_class_f64_e64 s2, v[17:18], 0x1f8
	v_and_b32_e32 v10, 1, v23
	v_add_f64 v[26:27], v[40:41], v[26:27]
	v_mad_u64_u32 v[28:29], null, v28, s3, v[8:9]
	v_and_b32_e32 v8, 1, v9
	v_lshlrev_b32_e32 v9, 30, v9
	v_ashrrev_i32_e32 v29, 31, v28
	v_and_b32_e32 v9, 0x80000000, v9
	v_add_f64 v[13:14], v[13:14], -v[15:16]
	v_add_f64 v[19:20], v[19:20], -v[21:22]
	v_lshlrev_b64 v[21:22], 3, v[28:29]
	v_add_f64 v[15:16], v[42:43], v[24:25]
	s_waitcnt lgkmcnt(0)
	v_add_co_u32 v21, vcc_lo, s0, v21
	v_add_co_ci_u32_e64 v22, null, s1, v22, vcc_lo
	v_cmp_class_f64_e64 s0, v[11:12], 0x1f8
	v_cmp_eq_u32_e32 vcc_lo, 0, v8
	v_cmp_eq_u32_e64 s1, 0, v10
	global_load_dwordx2 v[24:25], v[21:22], off
	v_lshlrev_b32_e32 v11, 30, v23
	v_and_b32_e32 v11, 0x80000000, v11
	v_cndmask_b32_e32 v8, v13, v26, vcc_lo
	v_xor_b32_e32 v12, 0x80000000, v14
	v_xor_b32_e32 v13, 0x80000000, v20
	v_cndmask_b32_e64 v10, v19, v15, s1
	v_cndmask_b32_e32 v12, v12, v27, vcc_lo
	v_cndmask_b32_e64 v13, v13, v16, s1
	v_cndmask_b32_e64 v10, 0, v10, s2
	s_waitcnt vmcnt(1)
	v_cmp_eq_f64_e64 s1, 0, v[6:7]
	v_xor_b32_e32 v9, v12, v9
	v_xor_b32_e32 v11, v13, v11
	v_cndmask_b32_e64 v8, 0, v8, s0
	v_cndmask_b32_e64 v9, 0x7ff80000, v9, s0
	;; [unrolled: 1-line block ×3, first 2 shown]
	v_cmp_eq_f64_e64 s0, 0, v[2:3]
	v_mul_f64 v[8:9], v[8:9], v[10:11]
	v_mul_f64 v[10:11], s[8:9], s[10:11]
	s_and_b32 s0, s0, s1
	v_cndmask_b32_e64 v3, v3, v1, s0
	v_cndmask_b32_e64 v2, v2, v0, s0
	v_mul_f64 v[8:9], s[12:13], v[8:9]
	v_mul_f64 v[10:11], v[10:11], s[18:19]
	v_cndmask_b32_e64 v7, v7, v5, s0
	v_cndmask_b32_e64 v6, v6, v4, s0
	v_add_f64 v[2:3], v[6:7], -v[2:3]
	v_mul_f64 v[8:9], s[14:15], v[8:9]
	v_add_f64 v[2:3], v[2:3], -v[4:5]
	v_div_scale_f64 v[12:13], null, v[8:9], v[8:9], v[10:11]
	v_add_f64 v[0:1], v[0:1], v[2:3]
	v_rcp_f64_e32 v[14:15], v[12:13]
	v_fma_f64 v[16:17], -v[12:13], v[14:15], 1.0
	v_fma_f64 v[14:15], v[14:15], v[16:17], v[14:15]
	v_fma_f64 v[16:17], -v[12:13], v[14:15], 1.0
	v_fma_f64 v[14:15], v[14:15], v[16:17], v[14:15]
	v_div_scale_f64 v[16:17], vcc_lo, v[10:11], v[8:9], v[10:11]
	v_mul_f64 v[18:19], v[16:17], v[14:15]
	v_fma_f64 v[6:7], -v[12:13], v[18:19], v[16:17]
	v_div_fmas_f64 v[4:5], v[6:7], v[14:15], v[18:19]
	v_div_fixup_f64 v[2:3], v[4:5], v[8:9], v[10:11]
	s_waitcnt vmcnt(0)
	v_fma_f64 v[0:1], v[0:1], v[2:3], v[24:25]
	global_store_dwordx2 v[21:22], v[0:1], off
.LBB6_10:
	s_endpgm
	.section	.rodata,"a",@progbits
	.p2align	6, 0x0
	.amdhsa_kernel _Z22differentiation_kernelPdPKddddS1_S1_S1_iiiidddddi
		.amdhsa_group_segment_fixed_size 0
		.amdhsa_private_segment_fixed_size 0
		.amdhsa_kernarg_size 384
		.amdhsa_user_sgpr_count 6
		.amdhsa_user_sgpr_private_segment_buffer 1
		.amdhsa_user_sgpr_dispatch_ptr 0
		.amdhsa_user_sgpr_queue_ptr 0
		.amdhsa_user_sgpr_kernarg_segment_ptr 1
		.amdhsa_user_sgpr_dispatch_id 0
		.amdhsa_user_sgpr_flat_scratch_init 0
		.amdhsa_user_sgpr_private_segment_size 0
		.amdhsa_wavefront_size32 1
		.amdhsa_uses_dynamic_stack 0
		.amdhsa_system_sgpr_private_segment_wavefront_offset 0
		.amdhsa_system_sgpr_workgroup_id_x 1
		.amdhsa_system_sgpr_workgroup_id_y 1
		.amdhsa_system_sgpr_workgroup_id_z 0
		.amdhsa_system_sgpr_workgroup_info 0
		.amdhsa_system_vgpr_workitem_id 1
		.amdhsa_next_free_vgpr 56
		.amdhsa_next_free_sgpr 28
		.amdhsa_reserve_vcc 1
		.amdhsa_reserve_flat_scratch 0
		.amdhsa_float_round_mode_32 0
		.amdhsa_float_round_mode_16_64 0
		.amdhsa_float_denorm_mode_32 3
		.amdhsa_float_denorm_mode_16_64 3
		.amdhsa_dx10_clamp 1
		.amdhsa_ieee_mode 1
		.amdhsa_fp16_overflow 0
		.amdhsa_workgroup_processor_mode 1
		.amdhsa_memory_ordered 1
		.amdhsa_forward_progress 1
		.amdhsa_shared_vgpr_count 0
		.amdhsa_exception_fp_ieee_invalid_op 0
		.amdhsa_exception_fp_denorm_src 0
		.amdhsa_exception_fp_ieee_div_zero 0
		.amdhsa_exception_fp_ieee_overflow 0
		.amdhsa_exception_fp_ieee_underflow 0
		.amdhsa_exception_fp_ieee_inexact 0
		.amdhsa_exception_int_div_zero 0
	.end_amdhsa_kernel
	.text
.Lfunc_end6:
	.size	_Z22differentiation_kernelPdPKddddS1_S1_S1_iiiidddddi, .Lfunc_end6-_Z22differentiation_kernelPdPKddddS1_S1_S1_iiiidddddi
                                        ; -- End function
	.set _Z22differentiation_kernelPdPKddddS1_S1_S1_iiiidddddi.num_vgpr, 56
	.set _Z22differentiation_kernelPdPKddddS1_S1_S1_iiiidddddi.num_agpr, 0
	.set _Z22differentiation_kernelPdPKddddS1_S1_S1_iiiidddddi.numbered_sgpr, 28
	.set _Z22differentiation_kernelPdPKddddS1_S1_S1_iiiidddddi.num_named_barrier, 0
	.set _Z22differentiation_kernelPdPKddddS1_S1_S1_iiiidddddi.private_seg_size, 0
	.set _Z22differentiation_kernelPdPKddddS1_S1_S1_iiiidddddi.uses_vcc, 1
	.set _Z22differentiation_kernelPdPKddddS1_S1_S1_iiiidddddi.uses_flat_scratch, 0
	.set _Z22differentiation_kernelPdPKddddS1_S1_S1_iiiidddddi.has_dyn_sized_stack, 0
	.set _Z22differentiation_kernelPdPKddddS1_S1_S1_iiiidddddi.has_recursion, 0
	.set _Z22differentiation_kernelPdPKddddS1_S1_S1_iiiidddddi.has_indirect_call, 0
	.section	.AMDGPU.csdata,"",@progbits
; Kernel info:
; codeLenInByte = 4564
; TotalNumSgprs: 30
; NumVgprs: 56
; ScratchSize: 0
; MemoryBound: 0
; FloatMode: 240
; IeeeMode: 1
; LDSByteSize: 0 bytes/workgroup (compile time only)
; SGPRBlocks: 0
; VGPRBlocks: 6
; NumSGPRsForWavesPerEU: 30
; NumVGPRsForWavesPerEU: 56
; Occupancy: 16
; WaveLimiterHint : 0
; COMPUTE_PGM_RSRC2:SCRATCH_EN: 0
; COMPUTE_PGM_RSRC2:USER_SGPR: 6
; COMPUTE_PGM_RSRC2:TRAP_HANDLER: 0
; COMPUTE_PGM_RSRC2:TGID_X_EN: 1
; COMPUTE_PGM_RSRC2:TGID_Y_EN: 1
; COMPUTE_PGM_RSRC2:TGID_Z_EN: 0
; COMPUTE_PGM_RSRC2:TIDIG_COMP_CNT: 1
	.text
	.protected	_Z15division_kernelPdiiii ; -- Begin function _Z15division_kernelPdiiii
	.globl	_Z15division_kernelPdiiii
	.p2align	8
	.type	_Z15division_kernelPdiiii,@function
_Z15division_kernelPdiiii:              ; @_Z15division_kernelPdiiii
; %bb.0:
	s_clause 0x1
	s_load_dwordx2 s[0:1], s[4:5], 0x24
	s_load_dwordx4 s[12:15], s[4:5], 0x8
	s_waitcnt lgkmcnt(0)
	s_lshr_b32 s2, s0, 16
	s_and_b32 s0, s0, 0xffff
	s_and_b32 s1, s1, 0xffff
	v_mad_u64_u32 v[3:4], null, s6, s0, v[0:1]
	v_mad_u64_u32 v[0:1], null, s7, s2, v[1:2]
	;; [unrolled: 1-line block ×3, first 2 shown]
	v_cmp_gt_i32_e32 vcc_lo, s13, v3
	v_cmp_gt_i32_e64 s0, s12, v0
	s_and_b32 s0, vcc_lo, s0
	v_cmp_gt_i32_e64 s1, s14, v1
	s_and_b32 s0, s0, s1
	s_and_saveexec_b32 s1, s0
	s_cbranch_execz .LBB7_2
; %bb.1:
	v_mad_u64_u32 v[0:1], null, v1, s12, v[0:1]
	s_load_dwordx2 s[0:1], s[4:5], 0x0
	v_mad_u64_u32 v[0:1], null, v0, s13, v[3:4]
	v_cvt_f64_i32_e32 v[4:5], s15
	v_ashrrev_i32_e32 v1, 31, v0
	v_lshlrev_b64 v[0:1], 3, v[0:1]
	s_waitcnt lgkmcnt(0)
	v_add_co_u32 v0, vcc_lo, s0, v0
	v_add_co_ci_u32_e64 v1, null, s1, v1, vcc_lo
	global_load_dwordx2 v[2:3], v[0:1], off
	s_waitcnt vmcnt(0)
	v_div_scale_f64 v[6:7], null, v[4:5], v[4:5], v[2:3]
	v_rcp_f64_e32 v[8:9], v[6:7]
	v_fma_f64 v[10:11], -v[6:7], v[8:9], 1.0
	v_fma_f64 v[8:9], v[8:9], v[10:11], v[8:9]
	v_fma_f64 v[10:11], -v[6:7], v[8:9], 1.0
	v_fma_f64 v[8:9], v[8:9], v[10:11], v[8:9]
	v_div_scale_f64 v[10:11], vcc_lo, v[2:3], v[4:5], v[2:3]
	v_mul_f64 v[12:13], v[10:11], v[8:9]
	v_fma_f64 v[6:7], -v[6:7], v[12:13], v[10:11]
	v_div_fmas_f64 v[6:7], v[6:7], v[8:9], v[12:13]
	v_div_fixup_f64 v[2:3], v[6:7], v[4:5], v[2:3]
	global_store_dwordx2 v[0:1], v[2:3], off
.LBB7_2:
	s_endpgm
	.section	.rodata,"a",@progbits
	.p2align	6, 0x0
	.amdhsa_kernel _Z15division_kernelPdiiii
		.amdhsa_group_segment_fixed_size 0
		.amdhsa_private_segment_fixed_size 0
		.amdhsa_kernarg_size 280
		.amdhsa_user_sgpr_count 6
		.amdhsa_user_sgpr_private_segment_buffer 1
		.amdhsa_user_sgpr_dispatch_ptr 0
		.amdhsa_user_sgpr_queue_ptr 0
		.amdhsa_user_sgpr_kernarg_segment_ptr 1
		.amdhsa_user_sgpr_dispatch_id 0
		.amdhsa_user_sgpr_flat_scratch_init 0
		.amdhsa_user_sgpr_private_segment_size 0
		.amdhsa_wavefront_size32 1
		.amdhsa_uses_dynamic_stack 0
		.amdhsa_system_sgpr_private_segment_wavefront_offset 0
		.amdhsa_system_sgpr_workgroup_id_x 1
		.amdhsa_system_sgpr_workgroup_id_y 1
		.amdhsa_system_sgpr_workgroup_id_z 1
		.amdhsa_system_sgpr_workgroup_info 0
		.amdhsa_system_vgpr_workitem_id 2
		.amdhsa_next_free_vgpr 14
		.amdhsa_next_free_sgpr 16
		.amdhsa_reserve_vcc 1
		.amdhsa_reserve_flat_scratch 0
		.amdhsa_float_round_mode_32 0
		.amdhsa_float_round_mode_16_64 0
		.amdhsa_float_denorm_mode_32 3
		.amdhsa_float_denorm_mode_16_64 3
		.amdhsa_dx10_clamp 1
		.amdhsa_ieee_mode 1
		.amdhsa_fp16_overflow 0
		.amdhsa_workgroup_processor_mode 1
		.amdhsa_memory_ordered 1
		.amdhsa_forward_progress 1
		.amdhsa_shared_vgpr_count 0
		.amdhsa_exception_fp_ieee_invalid_op 0
		.amdhsa_exception_fp_denorm_src 0
		.amdhsa_exception_fp_ieee_div_zero 0
		.amdhsa_exception_fp_ieee_overflow 0
		.amdhsa_exception_fp_ieee_underflow 0
		.amdhsa_exception_fp_ieee_inexact 0
		.amdhsa_exception_int_div_zero 0
	.end_amdhsa_kernel
	.text
.Lfunc_end7:
	.size	_Z15division_kernelPdiiii, .Lfunc_end7-_Z15division_kernelPdiiii
                                        ; -- End function
	.set _Z15division_kernelPdiiii.num_vgpr, 14
	.set _Z15division_kernelPdiiii.num_agpr, 0
	.set _Z15division_kernelPdiiii.numbered_sgpr, 16
	.set _Z15division_kernelPdiiii.num_named_barrier, 0
	.set _Z15division_kernelPdiiii.private_seg_size, 0
	.set _Z15division_kernelPdiiii.uses_vcc, 1
	.set _Z15division_kernelPdiiii.uses_flat_scratch, 0
	.set _Z15division_kernelPdiiii.has_dyn_sized_stack, 0
	.set _Z15division_kernelPdiiii.has_recursion, 0
	.set _Z15division_kernelPdiiii.has_indirect_call, 0
	.section	.AMDGPU.csdata,"",@progbits
; Kernel info:
; codeLenInByte = 272
; TotalNumSgprs: 18
; NumVgprs: 14
; ScratchSize: 0
; MemoryBound: 0
; FloatMode: 240
; IeeeMode: 1
; LDSByteSize: 0 bytes/workgroup (compile time only)
; SGPRBlocks: 0
; VGPRBlocks: 1
; NumSGPRsForWavesPerEU: 18
; NumVGPRsForWavesPerEU: 14
; Occupancy: 16
; WaveLimiterHint : 0
; COMPUTE_PGM_RSRC2:SCRATCH_EN: 0
; COMPUTE_PGM_RSRC2:USER_SGPR: 6
; COMPUTE_PGM_RSRC2:TRAP_HANDLER: 0
; COMPUTE_PGM_RSRC2:TGID_X_EN: 1
; COMPUTE_PGM_RSRC2:TGID_Y_EN: 1
; COMPUTE_PGM_RSRC2:TGID_Z_EN: 1
; COMPUTE_PGM_RSRC2:TIDIG_COMP_CNT: 2
	.text
	.p2alignl 6, 3214868480
	.fill 48, 4, 3214868480
	.section	.AMDGPU.gpr_maximums,"",@progbits
	.set amdgpu.max_num_vgpr, 0
	.set amdgpu.max_num_agpr, 0
	.set amdgpu.max_num_sgpr, 0
	.text
	.type	__hip_cuid_32dae3ee3e9ed055,@object ; @__hip_cuid_32dae3ee3e9ed055
	.section	.bss,"aw",@nobits
	.globl	__hip_cuid_32dae3ee3e9ed055
__hip_cuid_32dae3ee3e9ed055:
	.byte	0                               ; 0x0
	.size	__hip_cuid_32dae3ee3e9ed055, 1

	.ident	"AMD clang version 22.0.0git (https://github.com/RadeonOpenCompute/llvm-project roc-7.2.4 26084 f58b06dce1f9c15707c5f808fd002e18c2accf7e)"
	.section	".note.GNU-stack","",@progbits
	.addrsig
	.addrsig_sym __hip_cuid_32dae3ee3e9ed055
	.amdgpu_metadata
---
amdhsa.kernels:
  - .args:
      - .address_space:  global
        .offset:         0
        .size:           8
        .value_kind:     global_buffer
      - .offset:         8
        .size:           4
        .value_kind:     by_value
      - .offset:         12
        .size:           4
        .value_kind:     by_value
      - .offset:         16
        .size:           4
        .value_kind:     by_value
      - .offset:         20
        .size:           4
        .value_kind:     by_value
      - .offset:         24
        .size:           4
        .value_kind:     hidden_block_count_x
      - .offset:         28
        .size:           4
        .value_kind:     hidden_block_count_y
      - .offset:         32
        .size:           4
        .value_kind:     hidden_block_count_z
      - .offset:         36
        .size:           2
        .value_kind:     hidden_group_size_x
      - .offset:         38
        .size:           2
        .value_kind:     hidden_group_size_y
      - .offset:         40
        .size:           2
        .value_kind:     hidden_group_size_z
      - .offset:         42
        .size:           2
        .value_kind:     hidden_remainder_x
      - .offset:         44
        .size:           2
        .value_kind:     hidden_remainder_y
      - .offset:         46
        .size:           2
        .value_kind:     hidden_remainder_z
      - .offset:         64
        .size:           8
        .value_kind:     hidden_global_offset_x
      - .offset:         72
        .size:           8
        .value_kind:     hidden_global_offset_y
      - .offset:         80
        .size:           8
        .value_kind:     hidden_global_offset_z
      - .offset:         88
        .size:           2
        .value_kind:     hidden_grid_dims
    .group_segment_fixed_size: 0
    .kernarg_segment_align: 8
    .kernarg_segment_size: 280
    .language:       OpenCL C
    .language_version:
      - 2
      - 0
    .max_flat_workgroup_size: 1024
    .name:           _Z22pad_projections_kernelPdiiii
    .private_segment_fixed_size: 0
    .sgpr_count:     10
    .sgpr_spill_count: 0
    .symbol:         _Z22pad_projections_kernelPdiiii.kd
    .uniform_work_group_size: 1
    .uses_dynamic_stack: false
    .vgpr_count:     4
    .vgpr_spill_count: 0
    .wavefront_size: 32
    .workgroup_processor_mode: 1
  - .args:
      - .address_space:  global
        .offset:         0
        .size:           8
        .value_kind:     global_buffer
      - .offset:         8
        .size:           4
        .value_kind:     by_value
      - .offset:         16
        .size:           8
        .value_kind:     by_value
      - .offset:         24
        .size:           8
        .value_kind:     by_value
      - .offset:         32
        .size:           8
        .value_kind:     by_value
      - .offset:         40
        .size:           4
        .value_kind:     hidden_block_count_x
      - .offset:         44
        .size:           4
        .value_kind:     hidden_block_count_y
      - .offset:         48
        .size:           4
        .value_kind:     hidden_block_count_z
      - .offset:         52
        .size:           2
        .value_kind:     hidden_group_size_x
      - .offset:         54
        .size:           2
        .value_kind:     hidden_group_size_y
      - .offset:         56
        .size:           2
        .value_kind:     hidden_group_size_z
      - .offset:         58
        .size:           2
        .value_kind:     hidden_remainder_x
      - .offset:         60
        .size:           2
        .value_kind:     hidden_remainder_y
      - .offset:         62
        .size:           2
        .value_kind:     hidden_remainder_z
      - .offset:         80
        .size:           8
        .value_kind:     hidden_global_offset_x
      - .offset:         88
        .size:           8
        .value_kind:     hidden_global_offset_y
      - .offset:         96
        .size:           8
        .value_kind:     hidden_global_offset_z
      - .offset:         104
        .size:           2
        .value_kind:     hidden_grid_dims
    .group_segment_fixed_size: 0
    .kernarg_segment_align: 8
    .kernarg_segment_size: 296
    .language:       OpenCL C
    .language_version:
      - 2
      - 0
    .max_flat_workgroup_size: 1024
    .name:           _Z20map_boudaries_kernelPdiddd
    .private_segment_fixed_size: 0
    .sgpr_count:     9
    .sgpr_spill_count: 0
    .symbol:         _Z20map_boudaries_kernelPdiddd.kd
    .uniform_work_group_size: 1
    .uses_dynamic_stack: false
    .vgpr_count:     4
    .vgpr_spill_count: 0
    .wavefront_size: 32
    .workgroup_processor_mode: 1
  - .args:
      - .actual_access:  write_only
        .address_space:  global
        .offset:         0
        .size:           8
        .value_kind:     global_buffer
      - .actual_access:  write_only
        .address_space:  global
        .offset:         8
        .size:           8
        .value_kind:     global_buffer
      - .actual_access:  read_only
        .address_space:  global
        .offset:         16
        .size:           8
        .value_kind:     global_buffer
      - .actual_access:  read_only
        .address_space:  global
        .offset:         24
        .size:           8
        .value_kind:     global_buffer
      - .offset:         32
        .size:           8
        .value_kind:     by_value
      - .offset:         40
        .size:           8
        .value_kind:     by_value
      - .offset:         48
        .size:           8
        .value_kind:     by_value
      - .offset:         56
        .size:           4
        .value_kind:     by_value
      - .offset:         64
        .size:           4
        .value_kind:     hidden_block_count_x
      - .offset:         68
        .size:           4
        .value_kind:     hidden_block_count_y
      - .offset:         72
        .size:           4
        .value_kind:     hidden_block_count_z
      - .offset:         76
        .size:           2
        .value_kind:     hidden_group_size_x
      - .offset:         78
        .size:           2
        .value_kind:     hidden_group_size_y
      - .offset:         80
        .size:           2
        .value_kind:     hidden_group_size_z
      - .offset:         82
        .size:           2
        .value_kind:     hidden_remainder_x
      - .offset:         84
        .size:           2
        .value_kind:     hidden_remainder_y
      - .offset:         86
        .size:           2
        .value_kind:     hidden_remainder_z
      - .offset:         104
        .size:           8
        .value_kind:     hidden_global_offset_x
      - .offset:         112
        .size:           8
        .value_kind:     hidden_global_offset_y
      - .offset:         120
        .size:           8
        .value_kind:     hidden_global_offset_z
      - .offset:         128
        .size:           2
        .value_kind:     hidden_grid_dims
    .group_segment_fixed_size: 0
    .kernarg_segment_align: 8
    .kernarg_segment_size: 320
    .language:       OpenCL C
    .language_version:
      - 2
      - 0
    .max_flat_workgroup_size: 1024
    .name:           _Z19rot_detector_kernelPdS_PKdS1_dddi
    .private_segment_fixed_size: 0
    .sgpr_count:     20
    .sgpr_spill_count: 0
    .symbol:         _Z19rot_detector_kernelPdS_PKdS1_dddi.kd
    .uniform_work_group_size: 1
    .uses_dynamic_stack: false
    .vgpr_count:     55
    .vgpr_spill_count: 0
    .wavefront_size: 32
    .workgroup_processor_mode: 1
  - .args:
      - .actual_access:  write_only
        .address_space:  global
        .offset:         0
        .size:           8
        .value_kind:     global_buffer
      - .actual_access:  write_only
        .address_space:  global
        .offset:         8
        .size:           8
        .value_kind:     global_buffer
      - .offset:         16
        .size:           8
        .value_kind:     by_value
      - .offset:         24
        .size:           8
        .value_kind:     by_value
      - .offset:         32
        .size:           8
        .value_kind:     by_value
      - .actual_access:  read_only
        .address_space:  global
        .offset:         40
        .size:           8
        .value_kind:     global_buffer
      - .actual_access:  read_only
        .address_space:  global
        .offset:         48
        .size:           8
        .value_kind:     global_buffer
      - .actual_access:  read_only
        .address_space:  global
        .offset:         56
        .size:           8
        .value_kind:     global_buffer
      - .actual_access:  read_only
        .address_space:  global
        .offset:         64
        .size:           8
        .value_kind:     global_buffer
      - .offset:         72
        .size:           4
        .value_kind:     by_value
      - .offset:         76
        .size:           4
        .value_kind:     by_value
      - .offset:         80
        .size:           4
        .value_kind:     by_value
      - .offset:         88
        .size:           4
        .value_kind:     hidden_block_count_x
      - .offset:         92
        .size:           4
        .value_kind:     hidden_block_count_y
      - .offset:         96
        .size:           4
        .value_kind:     hidden_block_count_z
      - .offset:         100
        .size:           2
        .value_kind:     hidden_group_size_x
      - .offset:         102
        .size:           2
        .value_kind:     hidden_group_size_y
      - .offset:         104
        .size:           2
        .value_kind:     hidden_group_size_z
      - .offset:         106
        .size:           2
        .value_kind:     hidden_remainder_x
      - .offset:         108
        .size:           2
        .value_kind:     hidden_remainder_y
      - .offset:         110
        .size:           2
        .value_kind:     hidden_remainder_z
      - .offset:         128
        .size:           8
        .value_kind:     hidden_global_offset_x
      - .offset:         136
        .size:           8
        .value_kind:     hidden_global_offset_y
      - .offset:         144
        .size:           8
        .value_kind:     hidden_global_offset_z
      - .offset:         152
        .size:           2
        .value_kind:     hidden_grid_dims
    .group_segment_fixed_size: 0
    .kernarg_segment_align: 8
    .kernarg_segment_size: 344
    .language:       OpenCL C
    .language_version:
      - 2
      - 0
    .max_flat_workgroup_size: 1024
    .name:           _Z19mapDet2Slice_kernelPdS_dddPKdS1_S1_S1_iii
    .private_segment_fixed_size: 0
    .sgpr_count:     22
    .sgpr_spill_count: 0
    .symbol:         _Z19mapDet2Slice_kernelPdS_dddPKdS1_S1_S1_iii.kd
    .uniform_work_group_size: 1
    .uses_dynamic_stack: false
    .vgpr_count:     20
    .vgpr_spill_count: 0
    .wavefront_size: 32
    .workgroup_processor_mode: 1
  - .args:
      - .address_space:  global
        .offset:         0
        .size:           8
        .value_kind:     global_buffer
      - .offset:         8
        .size:           4
        .value_kind:     by_value
      - .offset:         12
        .size:           4
        .value_kind:     by_value
      - .offset:         16
        .size:           1
        .value_kind:     by_value
      - .offset:         20
        .size:           4
        .value_kind:     by_value
      - .offset:         24
        .size:           4
        .value_kind:     by_value
      - .offset:         28
        .size:           4
        .value_kind:     by_value
      - .offset:         32
        .size:           4
        .value_kind:     hidden_block_count_x
      - .offset:         36
        .size:           4
        .value_kind:     hidden_block_count_y
      - .offset:         40
        .size:           4
        .value_kind:     hidden_block_count_z
      - .offset:         44
        .size:           2
        .value_kind:     hidden_group_size_x
      - .offset:         46
        .size:           2
        .value_kind:     hidden_group_size_y
      - .offset:         48
        .size:           2
        .value_kind:     hidden_group_size_z
      - .offset:         50
        .size:           2
        .value_kind:     hidden_remainder_x
      - .offset:         52
        .size:           2
        .value_kind:     hidden_remainder_y
      - .offset:         54
        .size:           2
        .value_kind:     hidden_remainder_z
      - .offset:         72
        .size:           8
        .value_kind:     hidden_global_offset_x
      - .offset:         80
        .size:           8
        .value_kind:     hidden_global_offset_y
      - .offset:         88
        .size:           8
        .value_kind:     hidden_global_offset_z
      - .offset:         96
        .size:           2
        .value_kind:     hidden_grid_dims
    .group_segment_fixed_size: 0
    .kernarg_segment_align: 8
    .kernarg_segment_size: 288
    .language:       OpenCL C
    .language_version:
      - 2
      - 0
    .max_flat_workgroup_size: 1024
    .name:           _Z22img_integration_kernelPdiibiii
    .private_segment_fixed_size: 0
    .sgpr_count:     18
    .sgpr_spill_count: 0
    .symbol:         _Z22img_integration_kernelPdiibiii.kd
    .uniform_work_group_size: 1
    .uses_dynamic_stack: false
    .vgpr_count:     12
    .vgpr_spill_count: 0
    .wavefront_size: 32
    .workgroup_processor_mode: 1
  - .args:
      - .actual_access:  write_only
        .address_space:  global
        .offset:         0
        .size:           8
        .value_kind:     global_buffer
      - .actual_access:  read_only
        .address_space:  global
        .offset:         8
        .size:           8
        .value_kind:     global_buffer
      - .actual_access:  read_only
        .address_space:  global
        .offset:         16
        .size:           8
        .value_kind:     global_buffer
      - .actual_access:  read_only
        .address_space:  global
        .offset:         24
        .size:           8
        .value_kind:     global_buffer
      - .actual_access:  read_only
        .address_space:  global
        .offset:         32
        .size:           8
        .value_kind:     global_buffer
      - .actual_access:  read_only
        .address_space:  global
        .offset:         40
        .size:           8
        .value_kind:     global_buffer
      - .offset:         48
        .size:           4
        .value_kind:     by_value
      - .offset:         52
        .size:           4
        .value_kind:     by_value
      - .offset:         56
        .size:           4
        .value_kind:     by_value
      - .offset:         60
        .size:           4
        .value_kind:     by_value
      - .offset:         64
        .size:           4
        .value_kind:     by_value
      - .offset:         68
        .size:           4
        .value_kind:     by_value
      - .offset:         72
        .size:           4
        .value_kind:     by_value
      - .offset:         80
        .size:           4
        .value_kind:     hidden_block_count_x
      - .offset:         84
        .size:           4
        .value_kind:     hidden_block_count_y
      - .offset:         88
        .size:           4
        .value_kind:     hidden_block_count_z
      - .offset:         92
        .size:           2
        .value_kind:     hidden_group_size_x
      - .offset:         94
        .size:           2
        .value_kind:     hidden_group_size_y
      - .offset:         96
        .size:           2
        .value_kind:     hidden_group_size_z
      - .offset:         98
        .size:           2
        .value_kind:     hidden_remainder_x
      - .offset:         100
        .size:           2
        .value_kind:     hidden_remainder_y
      - .offset:         102
        .size:           2
        .value_kind:     hidden_remainder_z
      - .offset:         120
        .size:           8
        .value_kind:     hidden_global_offset_x
      - .offset:         128
        .size:           8
        .value_kind:     hidden_global_offset_y
      - .offset:         136
        .size:           8
        .value_kind:     hidden_global_offset_z
      - .offset:         144
        .size:           2
        .value_kind:     hidden_grid_dims
    .group_segment_fixed_size: 0
    .kernarg_segment_align: 8
    .kernarg_segment_size: 336
    .language:       OpenCL C
    .language_version:
      - 2
      - 0
    .max_flat_workgroup_size: 1024
    .name:           _Z29bilinear_interpolation_kernelPdPKdS1_S1_S1_S1_iiiiiii
    .private_segment_fixed_size: 0
    .sgpr_count:     22
    .sgpr_spill_count: 0
    .symbol:         _Z29bilinear_interpolation_kernelPdPKdS1_S1_S1_S1_iiiiiii.kd
    .uniform_work_group_size: 1
    .uses_dynamic_stack: false
    .vgpr_count:     31
    .vgpr_spill_count: 0
    .wavefront_size: 32
    .workgroup_processor_mode: 1
  - .args:
      - .address_space:  global
        .offset:         0
        .size:           8
        .value_kind:     global_buffer
      - .actual_access:  read_only
        .address_space:  global
        .offset:         8
        .size:           8
        .value_kind:     global_buffer
      - .offset:         16
        .size:           8
        .value_kind:     by_value
      - .offset:         24
        .size:           8
        .value_kind:     by_value
      - .offset:         32
        .size:           8
        .value_kind:     by_value
      - .actual_access:  read_only
        .address_space:  global
        .offset:         40
        .size:           8
        .value_kind:     global_buffer
      - .actual_access:  read_only
        .address_space:  global
        .offset:         48
        .size:           8
        .value_kind:     global_buffer
      - .actual_access:  read_only
        .address_space:  global
        .offset:         56
        .size:           8
        .value_kind:     global_buffer
      - .offset:         64
        .size:           4
        .value_kind:     by_value
      - .offset:         68
        .size:           4
        .value_kind:     by_value
      - .offset:         72
        .size:           4
        .value_kind:     by_value
      - .offset:         76
        .size:           4
        .value_kind:     by_value
      - .offset:         80
        .size:           8
        .value_kind:     by_value
      - .offset:         88
        .size:           8
        .value_kind:     by_value
      - .offset:         96
        .size:           8
        .value_kind:     by_value
      - .offset:         104
        .size:           8
        .value_kind:     by_value
      - .offset:         112
        .size:           8
        .value_kind:     by_value
      - .offset:         120
        .size:           4
        .value_kind:     by_value
      - .offset:         128
        .size:           4
        .value_kind:     hidden_block_count_x
      - .offset:         132
        .size:           4
        .value_kind:     hidden_block_count_y
      - .offset:         136
        .size:           4
        .value_kind:     hidden_block_count_z
      - .offset:         140
        .size:           2
        .value_kind:     hidden_group_size_x
      - .offset:         142
        .size:           2
        .value_kind:     hidden_group_size_y
      - .offset:         144
        .size:           2
        .value_kind:     hidden_group_size_z
      - .offset:         146
        .size:           2
        .value_kind:     hidden_remainder_x
      - .offset:         148
        .size:           2
        .value_kind:     hidden_remainder_y
      - .offset:         150
        .size:           2
        .value_kind:     hidden_remainder_z
      - .offset:         168
        .size:           8
        .value_kind:     hidden_global_offset_x
      - .offset:         176
        .size:           8
        .value_kind:     hidden_global_offset_y
      - .offset:         184
        .size:           8
        .value_kind:     hidden_global_offset_z
      - .offset:         192
        .size:           2
        .value_kind:     hidden_grid_dims
    .group_segment_fixed_size: 0
    .kernarg_segment_align: 8
    .kernarg_segment_size: 384
    .language:       OpenCL C
    .language_version:
      - 2
      - 0
    .max_flat_workgroup_size: 1024
    .name:           _Z22differentiation_kernelPdPKddddS1_S1_S1_iiiidddddi
    .private_segment_fixed_size: 0
    .sgpr_count:     30
    .sgpr_spill_count: 0
    .symbol:         _Z22differentiation_kernelPdPKddddS1_S1_S1_iiiidddddi.kd
    .uniform_work_group_size: 1
    .uses_dynamic_stack: false
    .vgpr_count:     56
    .vgpr_spill_count: 0
    .wavefront_size: 32
    .workgroup_processor_mode: 1
  - .args:
      - .address_space:  global
        .offset:         0
        .size:           8
        .value_kind:     global_buffer
      - .offset:         8
        .size:           4
        .value_kind:     by_value
      - .offset:         12
        .size:           4
        .value_kind:     by_value
      - .offset:         16
        .size:           4
        .value_kind:     by_value
      - .offset:         20
        .size:           4
        .value_kind:     by_value
      - .offset:         24
        .size:           4
        .value_kind:     hidden_block_count_x
      - .offset:         28
        .size:           4
        .value_kind:     hidden_block_count_y
      - .offset:         32
        .size:           4
        .value_kind:     hidden_block_count_z
      - .offset:         36
        .size:           2
        .value_kind:     hidden_group_size_x
      - .offset:         38
        .size:           2
        .value_kind:     hidden_group_size_y
      - .offset:         40
        .size:           2
        .value_kind:     hidden_group_size_z
      - .offset:         42
        .size:           2
        .value_kind:     hidden_remainder_x
      - .offset:         44
        .size:           2
        .value_kind:     hidden_remainder_y
      - .offset:         46
        .size:           2
        .value_kind:     hidden_remainder_z
      - .offset:         64
        .size:           8
        .value_kind:     hidden_global_offset_x
      - .offset:         72
        .size:           8
        .value_kind:     hidden_global_offset_y
      - .offset:         80
        .size:           8
        .value_kind:     hidden_global_offset_z
      - .offset:         88
        .size:           2
        .value_kind:     hidden_grid_dims
    .group_segment_fixed_size: 0
    .kernarg_segment_align: 8
    .kernarg_segment_size: 280
    .language:       OpenCL C
    .language_version:
      - 2
      - 0
    .max_flat_workgroup_size: 1024
    .name:           _Z15division_kernelPdiiii
    .private_segment_fixed_size: 0
    .sgpr_count:     18
    .sgpr_spill_count: 0
    .symbol:         _Z15division_kernelPdiiii.kd
    .uniform_work_group_size: 1
    .uses_dynamic_stack: false
    .vgpr_count:     14
    .vgpr_spill_count: 0
    .wavefront_size: 32
    .workgroup_processor_mode: 1
amdhsa.target:   amdgcn-amd-amdhsa--gfx1030
amdhsa.version:
  - 1
  - 2
...

	.end_amdgpu_metadata
